;; amdgpu-corpus repo=ROCm/rocThrust kind=compiled arch=gfx1030 opt=O3
	.amdgcn_target "amdgcn-amd-amdhsa--gfx1030"
	.amdhsa_code_object_version 6
	.section	.text._ZN6thrust23THRUST_200600_302600_NS11hip_rocprim14__parallel_for6kernelILj256ENS1_20__uninitialized_fill7functorINS0_10device_ptrIfEEfEEmLj1EEEvT0_T1_SA_,"axG",@progbits,_ZN6thrust23THRUST_200600_302600_NS11hip_rocprim14__parallel_for6kernelILj256ENS1_20__uninitialized_fill7functorINS0_10device_ptrIfEEfEEmLj1EEEvT0_T1_SA_,comdat
	.protected	_ZN6thrust23THRUST_200600_302600_NS11hip_rocprim14__parallel_for6kernelILj256ENS1_20__uninitialized_fill7functorINS0_10device_ptrIfEEfEEmLj1EEEvT0_T1_SA_ ; -- Begin function _ZN6thrust23THRUST_200600_302600_NS11hip_rocprim14__parallel_for6kernelILj256ENS1_20__uninitialized_fill7functorINS0_10device_ptrIfEEfEEmLj1EEEvT0_T1_SA_
	.globl	_ZN6thrust23THRUST_200600_302600_NS11hip_rocprim14__parallel_for6kernelILj256ENS1_20__uninitialized_fill7functorINS0_10device_ptrIfEEfEEmLj1EEEvT0_T1_SA_
	.p2align	8
	.type	_ZN6thrust23THRUST_200600_302600_NS11hip_rocprim14__parallel_for6kernelILj256ENS1_20__uninitialized_fill7functorINS0_10device_ptrIfEEfEEmLj1EEEvT0_T1_SA_,@function
_ZN6thrust23THRUST_200600_302600_NS11hip_rocprim14__parallel_for6kernelILj256ENS1_20__uninitialized_fill7functorINS0_10device_ptrIfEEfEEmLj1EEEvT0_T1_SA_: ; @_ZN6thrust23THRUST_200600_302600_NS11hip_rocprim14__parallel_for6kernelILj256ENS1_20__uninitialized_fill7functorINS0_10device_ptrIfEEfEEmLj1EEEvT0_T1_SA_
; %bb.0:
	s_clause 0x2
	s_load_dwordx4 s[8:11], s[4:5], 0x10
	s_load_dwordx2 s[0:1], s[4:5], 0x0
	s_load_dword s7, s[4:5], 0x8
	s_lshl_b32 s2, s6, 8
	s_waitcnt lgkmcnt(0)
	s_add_u32 s2, s10, s2
	s_addc_u32 s3, s11, 0
	s_sub_u32 s4, s8, s2
	s_subb_u32 s5, s9, s3
	v_cmp_lt_u64_e64 s5, 0xff, s[4:5]
	s_and_b32 vcc_lo, exec_lo, s5
	s_mov_b32 s5, -1
	s_cbranch_vccz .LBB0_3
; %bb.1:
	s_andn2_b32 vcc_lo, exec_lo, s5
	s_cbranch_vccz .LBB0_6
.LBB0_2:
	s_endpgm
.LBB0_3:
	v_cmp_gt_u32_e32 vcc_lo, s4, v0
	s_and_saveexec_b32 s4, vcc_lo
	s_cbranch_execz .LBB0_5
; %bb.4:
	v_lshlrev_b32_e32 v1, 2, v0
	s_lshl_b64 s[8:9], s[2:3], 2
	v_mov_b32_e32 v3, s7
	s_add_u32 s5, s0, s8
	s_addc_u32 s6, s1, s9
	v_add_co_u32 v1, s5, s5, v1
	v_add_co_ci_u32_e64 v2, null, s6, 0, s5
	flat_store_dword v[1:2], v3
.LBB0_5:
	s_or_b32 exec_lo, exec_lo, s4
	s_cbranch_execnz .LBB0_2
.LBB0_6:
	v_lshlrev_b32_e32 v0, 2, v0
	s_lshl_b64 s[2:3], s[2:3], 2
	v_mov_b32_e32 v2, s7
	s_add_u32 s0, s0, s2
	s_addc_u32 s1, s1, s3
	v_add_co_u32 v0, s0, s0, v0
	v_add_co_ci_u32_e64 v1, null, s1, 0, s0
	flat_store_dword v[0:1], v2
	s_endpgm
	.section	.rodata,"a",@progbits
	.p2align	6, 0x0
	.amdhsa_kernel _ZN6thrust23THRUST_200600_302600_NS11hip_rocprim14__parallel_for6kernelILj256ENS1_20__uninitialized_fill7functorINS0_10device_ptrIfEEfEEmLj1EEEvT0_T1_SA_
		.amdhsa_group_segment_fixed_size 0
		.amdhsa_private_segment_fixed_size 0
		.amdhsa_kernarg_size 32
		.amdhsa_user_sgpr_count 6
		.amdhsa_user_sgpr_private_segment_buffer 1
		.amdhsa_user_sgpr_dispatch_ptr 0
		.amdhsa_user_sgpr_queue_ptr 0
		.amdhsa_user_sgpr_kernarg_segment_ptr 1
		.amdhsa_user_sgpr_dispatch_id 0
		.amdhsa_user_sgpr_flat_scratch_init 0
		.amdhsa_user_sgpr_private_segment_size 0
		.amdhsa_wavefront_size32 1
		.amdhsa_uses_dynamic_stack 0
		.amdhsa_system_sgpr_private_segment_wavefront_offset 0
		.amdhsa_system_sgpr_workgroup_id_x 1
		.amdhsa_system_sgpr_workgroup_id_y 0
		.amdhsa_system_sgpr_workgroup_id_z 0
		.amdhsa_system_sgpr_workgroup_info 0
		.amdhsa_system_vgpr_workitem_id 0
		.amdhsa_next_free_vgpr 4
		.amdhsa_next_free_sgpr 12
		.amdhsa_reserve_vcc 1
		.amdhsa_reserve_flat_scratch 0
		.amdhsa_float_round_mode_32 0
		.amdhsa_float_round_mode_16_64 0
		.amdhsa_float_denorm_mode_32 3
		.amdhsa_float_denorm_mode_16_64 3
		.amdhsa_dx10_clamp 1
		.amdhsa_ieee_mode 1
		.amdhsa_fp16_overflow 0
		.amdhsa_workgroup_processor_mode 1
		.amdhsa_memory_ordered 1
		.amdhsa_forward_progress 1
		.amdhsa_shared_vgpr_count 0
		.amdhsa_exception_fp_ieee_invalid_op 0
		.amdhsa_exception_fp_denorm_src 0
		.amdhsa_exception_fp_ieee_div_zero 0
		.amdhsa_exception_fp_ieee_overflow 0
		.amdhsa_exception_fp_ieee_underflow 0
		.amdhsa_exception_fp_ieee_inexact 0
		.amdhsa_exception_int_div_zero 0
	.end_amdhsa_kernel
	.section	.text._ZN6thrust23THRUST_200600_302600_NS11hip_rocprim14__parallel_for6kernelILj256ENS1_20__uninitialized_fill7functorINS0_10device_ptrIfEEfEEmLj1EEEvT0_T1_SA_,"axG",@progbits,_ZN6thrust23THRUST_200600_302600_NS11hip_rocprim14__parallel_for6kernelILj256ENS1_20__uninitialized_fill7functorINS0_10device_ptrIfEEfEEmLj1EEEvT0_T1_SA_,comdat
.Lfunc_end0:
	.size	_ZN6thrust23THRUST_200600_302600_NS11hip_rocprim14__parallel_for6kernelILj256ENS1_20__uninitialized_fill7functorINS0_10device_ptrIfEEfEEmLj1EEEvT0_T1_SA_, .Lfunc_end0-_ZN6thrust23THRUST_200600_302600_NS11hip_rocprim14__parallel_for6kernelILj256ENS1_20__uninitialized_fill7functorINS0_10device_ptrIfEEfEEmLj1EEEvT0_T1_SA_
                                        ; -- End function
	.set _ZN6thrust23THRUST_200600_302600_NS11hip_rocprim14__parallel_for6kernelILj256ENS1_20__uninitialized_fill7functorINS0_10device_ptrIfEEfEEmLj1EEEvT0_T1_SA_.num_vgpr, 4
	.set _ZN6thrust23THRUST_200600_302600_NS11hip_rocprim14__parallel_for6kernelILj256ENS1_20__uninitialized_fill7functorINS0_10device_ptrIfEEfEEmLj1EEEvT0_T1_SA_.num_agpr, 0
	.set _ZN6thrust23THRUST_200600_302600_NS11hip_rocprim14__parallel_for6kernelILj256ENS1_20__uninitialized_fill7functorINS0_10device_ptrIfEEfEEmLj1EEEvT0_T1_SA_.numbered_sgpr, 12
	.set _ZN6thrust23THRUST_200600_302600_NS11hip_rocprim14__parallel_for6kernelILj256ENS1_20__uninitialized_fill7functorINS0_10device_ptrIfEEfEEmLj1EEEvT0_T1_SA_.num_named_barrier, 0
	.set _ZN6thrust23THRUST_200600_302600_NS11hip_rocprim14__parallel_for6kernelILj256ENS1_20__uninitialized_fill7functorINS0_10device_ptrIfEEfEEmLj1EEEvT0_T1_SA_.private_seg_size, 0
	.set _ZN6thrust23THRUST_200600_302600_NS11hip_rocprim14__parallel_for6kernelILj256ENS1_20__uninitialized_fill7functorINS0_10device_ptrIfEEfEEmLj1EEEvT0_T1_SA_.uses_vcc, 1
	.set _ZN6thrust23THRUST_200600_302600_NS11hip_rocprim14__parallel_for6kernelILj256ENS1_20__uninitialized_fill7functorINS0_10device_ptrIfEEfEEmLj1EEEvT0_T1_SA_.uses_flat_scratch, 0
	.set _ZN6thrust23THRUST_200600_302600_NS11hip_rocprim14__parallel_for6kernelILj256ENS1_20__uninitialized_fill7functorINS0_10device_ptrIfEEfEEmLj1EEEvT0_T1_SA_.has_dyn_sized_stack, 0
	.set _ZN6thrust23THRUST_200600_302600_NS11hip_rocprim14__parallel_for6kernelILj256ENS1_20__uninitialized_fill7functorINS0_10device_ptrIfEEfEEmLj1EEEvT0_T1_SA_.has_recursion, 0
	.set _ZN6thrust23THRUST_200600_302600_NS11hip_rocprim14__parallel_for6kernelILj256ENS1_20__uninitialized_fill7functorINS0_10device_ptrIfEEfEEmLj1EEEvT0_T1_SA_.has_indirect_call, 0
	.section	.AMDGPU.csdata,"",@progbits
; Kernel info:
; codeLenInByte = 200
; TotalNumSgprs: 14
; NumVgprs: 4
; ScratchSize: 0
; MemoryBound: 0
; FloatMode: 240
; IeeeMode: 1
; LDSByteSize: 0 bytes/workgroup (compile time only)
; SGPRBlocks: 0
; VGPRBlocks: 0
; NumSGPRsForWavesPerEU: 14
; NumVGPRsForWavesPerEU: 4
; Occupancy: 16
; WaveLimiterHint : 0
; COMPUTE_PGM_RSRC2:SCRATCH_EN: 0
; COMPUTE_PGM_RSRC2:USER_SGPR: 6
; COMPUTE_PGM_RSRC2:TRAP_HANDLER: 0
; COMPUTE_PGM_RSRC2:TGID_X_EN: 1
; COMPUTE_PGM_RSRC2:TGID_Y_EN: 0
; COMPUTE_PGM_RSRC2:TGID_Z_EN: 0
; COMPUTE_PGM_RSRC2:TIDIG_COMP_CNT: 0
	.section	.text._ZN7rocprim17ROCPRIM_400000_NS6detail17trampoline_kernelINS0_14default_configENS1_22reduce_config_selectorIN6thrust23THRUST_200600_302600_NS5tupleIbffNS6_9null_typeES8_S8_S8_S8_S8_S8_EEEEZNS1_11reduce_implILb1ES3_PS9_SC_S9_12reduce_tupleIifEEE10hipError_tPvRmT1_T2_T3_mT4_P12ihipStream_tbEUlT_E0_NS1_11comp_targetILNS1_3genE0ELNS1_11target_archE4294967295ELNS1_3gpuE0ELNS1_3repE0EEENS1_30default_config_static_selectorELNS0_4arch9wavefront6targetE0EEEvSI_,"axG",@progbits,_ZN7rocprim17ROCPRIM_400000_NS6detail17trampoline_kernelINS0_14default_configENS1_22reduce_config_selectorIN6thrust23THRUST_200600_302600_NS5tupleIbffNS6_9null_typeES8_S8_S8_S8_S8_S8_EEEEZNS1_11reduce_implILb1ES3_PS9_SC_S9_12reduce_tupleIifEEE10hipError_tPvRmT1_T2_T3_mT4_P12ihipStream_tbEUlT_E0_NS1_11comp_targetILNS1_3genE0ELNS1_11target_archE4294967295ELNS1_3gpuE0ELNS1_3repE0EEENS1_30default_config_static_selectorELNS0_4arch9wavefront6targetE0EEEvSI_,comdat
	.protected	_ZN7rocprim17ROCPRIM_400000_NS6detail17trampoline_kernelINS0_14default_configENS1_22reduce_config_selectorIN6thrust23THRUST_200600_302600_NS5tupleIbffNS6_9null_typeES8_S8_S8_S8_S8_S8_EEEEZNS1_11reduce_implILb1ES3_PS9_SC_S9_12reduce_tupleIifEEE10hipError_tPvRmT1_T2_T3_mT4_P12ihipStream_tbEUlT_E0_NS1_11comp_targetILNS1_3genE0ELNS1_11target_archE4294967295ELNS1_3gpuE0ELNS1_3repE0EEENS1_30default_config_static_selectorELNS0_4arch9wavefront6targetE0EEEvSI_ ; -- Begin function _ZN7rocprim17ROCPRIM_400000_NS6detail17trampoline_kernelINS0_14default_configENS1_22reduce_config_selectorIN6thrust23THRUST_200600_302600_NS5tupleIbffNS6_9null_typeES8_S8_S8_S8_S8_S8_EEEEZNS1_11reduce_implILb1ES3_PS9_SC_S9_12reduce_tupleIifEEE10hipError_tPvRmT1_T2_T3_mT4_P12ihipStream_tbEUlT_E0_NS1_11comp_targetILNS1_3genE0ELNS1_11target_archE4294967295ELNS1_3gpuE0ELNS1_3repE0EEENS1_30default_config_static_selectorELNS0_4arch9wavefront6targetE0EEEvSI_
	.globl	_ZN7rocprim17ROCPRIM_400000_NS6detail17trampoline_kernelINS0_14default_configENS1_22reduce_config_selectorIN6thrust23THRUST_200600_302600_NS5tupleIbffNS6_9null_typeES8_S8_S8_S8_S8_S8_EEEEZNS1_11reduce_implILb1ES3_PS9_SC_S9_12reduce_tupleIifEEE10hipError_tPvRmT1_T2_T3_mT4_P12ihipStream_tbEUlT_E0_NS1_11comp_targetILNS1_3genE0ELNS1_11target_archE4294967295ELNS1_3gpuE0ELNS1_3repE0EEENS1_30default_config_static_selectorELNS0_4arch9wavefront6targetE0EEEvSI_
	.p2align	8
	.type	_ZN7rocprim17ROCPRIM_400000_NS6detail17trampoline_kernelINS0_14default_configENS1_22reduce_config_selectorIN6thrust23THRUST_200600_302600_NS5tupleIbffNS6_9null_typeES8_S8_S8_S8_S8_S8_EEEEZNS1_11reduce_implILb1ES3_PS9_SC_S9_12reduce_tupleIifEEE10hipError_tPvRmT1_T2_T3_mT4_P12ihipStream_tbEUlT_E0_NS1_11comp_targetILNS1_3genE0ELNS1_11target_archE4294967295ELNS1_3gpuE0ELNS1_3repE0EEENS1_30default_config_static_selectorELNS0_4arch9wavefront6targetE0EEEvSI_,@function
_ZN7rocprim17ROCPRIM_400000_NS6detail17trampoline_kernelINS0_14default_configENS1_22reduce_config_selectorIN6thrust23THRUST_200600_302600_NS5tupleIbffNS6_9null_typeES8_S8_S8_S8_S8_S8_EEEEZNS1_11reduce_implILb1ES3_PS9_SC_S9_12reduce_tupleIifEEE10hipError_tPvRmT1_T2_T3_mT4_P12ihipStream_tbEUlT_E0_NS1_11comp_targetILNS1_3genE0ELNS1_11target_archE4294967295ELNS1_3gpuE0ELNS1_3repE0EEENS1_30default_config_static_selectorELNS0_4arch9wavefront6targetE0EEEvSI_: ; @_ZN7rocprim17ROCPRIM_400000_NS6detail17trampoline_kernelINS0_14default_configENS1_22reduce_config_selectorIN6thrust23THRUST_200600_302600_NS5tupleIbffNS6_9null_typeES8_S8_S8_S8_S8_S8_EEEEZNS1_11reduce_implILb1ES3_PS9_SC_S9_12reduce_tupleIifEEE10hipError_tPvRmT1_T2_T3_mT4_P12ihipStream_tbEUlT_E0_NS1_11comp_targetILNS1_3genE0ELNS1_11target_archE4294967295ELNS1_3gpuE0ELNS1_3repE0EEENS1_30default_config_static_selectorELNS0_4arch9wavefront6targetE0EEEvSI_
; %bb.0:
	.section	.rodata,"a",@progbits
	.p2align	6, 0x0
	.amdhsa_kernel _ZN7rocprim17ROCPRIM_400000_NS6detail17trampoline_kernelINS0_14default_configENS1_22reduce_config_selectorIN6thrust23THRUST_200600_302600_NS5tupleIbffNS6_9null_typeES8_S8_S8_S8_S8_S8_EEEEZNS1_11reduce_implILb1ES3_PS9_SC_S9_12reduce_tupleIifEEE10hipError_tPvRmT1_T2_T3_mT4_P12ihipStream_tbEUlT_E0_NS1_11comp_targetILNS1_3genE0ELNS1_11target_archE4294967295ELNS1_3gpuE0ELNS1_3repE0EEENS1_30default_config_static_selectorELNS0_4arch9wavefront6targetE0EEEvSI_
		.amdhsa_group_segment_fixed_size 0
		.amdhsa_private_segment_fixed_size 0
		.amdhsa_kernarg_size 64
		.amdhsa_user_sgpr_count 6
		.amdhsa_user_sgpr_private_segment_buffer 1
		.amdhsa_user_sgpr_dispatch_ptr 0
		.amdhsa_user_sgpr_queue_ptr 0
		.amdhsa_user_sgpr_kernarg_segment_ptr 1
		.amdhsa_user_sgpr_dispatch_id 0
		.amdhsa_user_sgpr_flat_scratch_init 0
		.amdhsa_user_sgpr_private_segment_size 0
		.amdhsa_wavefront_size32 1
		.amdhsa_uses_dynamic_stack 0
		.amdhsa_system_sgpr_private_segment_wavefront_offset 0
		.amdhsa_system_sgpr_workgroup_id_x 1
		.amdhsa_system_sgpr_workgroup_id_y 0
		.amdhsa_system_sgpr_workgroup_id_z 0
		.amdhsa_system_sgpr_workgroup_info 0
		.amdhsa_system_vgpr_workitem_id 0
		.amdhsa_next_free_vgpr 1
		.amdhsa_next_free_sgpr 1
		.amdhsa_reserve_vcc 0
		.amdhsa_reserve_flat_scratch 0
		.amdhsa_float_round_mode_32 0
		.amdhsa_float_round_mode_16_64 0
		.amdhsa_float_denorm_mode_32 3
		.amdhsa_float_denorm_mode_16_64 3
		.amdhsa_dx10_clamp 1
		.amdhsa_ieee_mode 1
		.amdhsa_fp16_overflow 0
		.amdhsa_workgroup_processor_mode 1
		.amdhsa_memory_ordered 1
		.amdhsa_forward_progress 1
		.amdhsa_shared_vgpr_count 0
		.amdhsa_exception_fp_ieee_invalid_op 0
		.amdhsa_exception_fp_denorm_src 0
		.amdhsa_exception_fp_ieee_div_zero 0
		.amdhsa_exception_fp_ieee_overflow 0
		.amdhsa_exception_fp_ieee_underflow 0
		.amdhsa_exception_fp_ieee_inexact 0
		.amdhsa_exception_int_div_zero 0
	.end_amdhsa_kernel
	.section	.text._ZN7rocprim17ROCPRIM_400000_NS6detail17trampoline_kernelINS0_14default_configENS1_22reduce_config_selectorIN6thrust23THRUST_200600_302600_NS5tupleIbffNS6_9null_typeES8_S8_S8_S8_S8_S8_EEEEZNS1_11reduce_implILb1ES3_PS9_SC_S9_12reduce_tupleIifEEE10hipError_tPvRmT1_T2_T3_mT4_P12ihipStream_tbEUlT_E0_NS1_11comp_targetILNS1_3genE0ELNS1_11target_archE4294967295ELNS1_3gpuE0ELNS1_3repE0EEENS1_30default_config_static_selectorELNS0_4arch9wavefront6targetE0EEEvSI_,"axG",@progbits,_ZN7rocprim17ROCPRIM_400000_NS6detail17trampoline_kernelINS0_14default_configENS1_22reduce_config_selectorIN6thrust23THRUST_200600_302600_NS5tupleIbffNS6_9null_typeES8_S8_S8_S8_S8_S8_EEEEZNS1_11reduce_implILb1ES3_PS9_SC_S9_12reduce_tupleIifEEE10hipError_tPvRmT1_T2_T3_mT4_P12ihipStream_tbEUlT_E0_NS1_11comp_targetILNS1_3genE0ELNS1_11target_archE4294967295ELNS1_3gpuE0ELNS1_3repE0EEENS1_30default_config_static_selectorELNS0_4arch9wavefront6targetE0EEEvSI_,comdat
.Lfunc_end1:
	.size	_ZN7rocprim17ROCPRIM_400000_NS6detail17trampoline_kernelINS0_14default_configENS1_22reduce_config_selectorIN6thrust23THRUST_200600_302600_NS5tupleIbffNS6_9null_typeES8_S8_S8_S8_S8_S8_EEEEZNS1_11reduce_implILb1ES3_PS9_SC_S9_12reduce_tupleIifEEE10hipError_tPvRmT1_T2_T3_mT4_P12ihipStream_tbEUlT_E0_NS1_11comp_targetILNS1_3genE0ELNS1_11target_archE4294967295ELNS1_3gpuE0ELNS1_3repE0EEENS1_30default_config_static_selectorELNS0_4arch9wavefront6targetE0EEEvSI_, .Lfunc_end1-_ZN7rocprim17ROCPRIM_400000_NS6detail17trampoline_kernelINS0_14default_configENS1_22reduce_config_selectorIN6thrust23THRUST_200600_302600_NS5tupleIbffNS6_9null_typeES8_S8_S8_S8_S8_S8_EEEEZNS1_11reduce_implILb1ES3_PS9_SC_S9_12reduce_tupleIifEEE10hipError_tPvRmT1_T2_T3_mT4_P12ihipStream_tbEUlT_E0_NS1_11comp_targetILNS1_3genE0ELNS1_11target_archE4294967295ELNS1_3gpuE0ELNS1_3repE0EEENS1_30default_config_static_selectorELNS0_4arch9wavefront6targetE0EEEvSI_
                                        ; -- End function
	.set _ZN7rocprim17ROCPRIM_400000_NS6detail17trampoline_kernelINS0_14default_configENS1_22reduce_config_selectorIN6thrust23THRUST_200600_302600_NS5tupleIbffNS6_9null_typeES8_S8_S8_S8_S8_S8_EEEEZNS1_11reduce_implILb1ES3_PS9_SC_S9_12reduce_tupleIifEEE10hipError_tPvRmT1_T2_T3_mT4_P12ihipStream_tbEUlT_E0_NS1_11comp_targetILNS1_3genE0ELNS1_11target_archE4294967295ELNS1_3gpuE0ELNS1_3repE0EEENS1_30default_config_static_selectorELNS0_4arch9wavefront6targetE0EEEvSI_.num_vgpr, 0
	.set _ZN7rocprim17ROCPRIM_400000_NS6detail17trampoline_kernelINS0_14default_configENS1_22reduce_config_selectorIN6thrust23THRUST_200600_302600_NS5tupleIbffNS6_9null_typeES8_S8_S8_S8_S8_S8_EEEEZNS1_11reduce_implILb1ES3_PS9_SC_S9_12reduce_tupleIifEEE10hipError_tPvRmT1_T2_T3_mT4_P12ihipStream_tbEUlT_E0_NS1_11comp_targetILNS1_3genE0ELNS1_11target_archE4294967295ELNS1_3gpuE0ELNS1_3repE0EEENS1_30default_config_static_selectorELNS0_4arch9wavefront6targetE0EEEvSI_.num_agpr, 0
	.set _ZN7rocprim17ROCPRIM_400000_NS6detail17trampoline_kernelINS0_14default_configENS1_22reduce_config_selectorIN6thrust23THRUST_200600_302600_NS5tupleIbffNS6_9null_typeES8_S8_S8_S8_S8_S8_EEEEZNS1_11reduce_implILb1ES3_PS9_SC_S9_12reduce_tupleIifEEE10hipError_tPvRmT1_T2_T3_mT4_P12ihipStream_tbEUlT_E0_NS1_11comp_targetILNS1_3genE0ELNS1_11target_archE4294967295ELNS1_3gpuE0ELNS1_3repE0EEENS1_30default_config_static_selectorELNS0_4arch9wavefront6targetE0EEEvSI_.numbered_sgpr, 0
	.set _ZN7rocprim17ROCPRIM_400000_NS6detail17trampoline_kernelINS0_14default_configENS1_22reduce_config_selectorIN6thrust23THRUST_200600_302600_NS5tupleIbffNS6_9null_typeES8_S8_S8_S8_S8_S8_EEEEZNS1_11reduce_implILb1ES3_PS9_SC_S9_12reduce_tupleIifEEE10hipError_tPvRmT1_T2_T3_mT4_P12ihipStream_tbEUlT_E0_NS1_11comp_targetILNS1_3genE0ELNS1_11target_archE4294967295ELNS1_3gpuE0ELNS1_3repE0EEENS1_30default_config_static_selectorELNS0_4arch9wavefront6targetE0EEEvSI_.num_named_barrier, 0
	.set _ZN7rocprim17ROCPRIM_400000_NS6detail17trampoline_kernelINS0_14default_configENS1_22reduce_config_selectorIN6thrust23THRUST_200600_302600_NS5tupleIbffNS6_9null_typeES8_S8_S8_S8_S8_S8_EEEEZNS1_11reduce_implILb1ES3_PS9_SC_S9_12reduce_tupleIifEEE10hipError_tPvRmT1_T2_T3_mT4_P12ihipStream_tbEUlT_E0_NS1_11comp_targetILNS1_3genE0ELNS1_11target_archE4294967295ELNS1_3gpuE0ELNS1_3repE0EEENS1_30default_config_static_selectorELNS0_4arch9wavefront6targetE0EEEvSI_.private_seg_size, 0
	.set _ZN7rocprim17ROCPRIM_400000_NS6detail17trampoline_kernelINS0_14default_configENS1_22reduce_config_selectorIN6thrust23THRUST_200600_302600_NS5tupleIbffNS6_9null_typeES8_S8_S8_S8_S8_S8_EEEEZNS1_11reduce_implILb1ES3_PS9_SC_S9_12reduce_tupleIifEEE10hipError_tPvRmT1_T2_T3_mT4_P12ihipStream_tbEUlT_E0_NS1_11comp_targetILNS1_3genE0ELNS1_11target_archE4294967295ELNS1_3gpuE0ELNS1_3repE0EEENS1_30default_config_static_selectorELNS0_4arch9wavefront6targetE0EEEvSI_.uses_vcc, 0
	.set _ZN7rocprim17ROCPRIM_400000_NS6detail17trampoline_kernelINS0_14default_configENS1_22reduce_config_selectorIN6thrust23THRUST_200600_302600_NS5tupleIbffNS6_9null_typeES8_S8_S8_S8_S8_S8_EEEEZNS1_11reduce_implILb1ES3_PS9_SC_S9_12reduce_tupleIifEEE10hipError_tPvRmT1_T2_T3_mT4_P12ihipStream_tbEUlT_E0_NS1_11comp_targetILNS1_3genE0ELNS1_11target_archE4294967295ELNS1_3gpuE0ELNS1_3repE0EEENS1_30default_config_static_selectorELNS0_4arch9wavefront6targetE0EEEvSI_.uses_flat_scratch, 0
	.set _ZN7rocprim17ROCPRIM_400000_NS6detail17trampoline_kernelINS0_14default_configENS1_22reduce_config_selectorIN6thrust23THRUST_200600_302600_NS5tupleIbffNS6_9null_typeES8_S8_S8_S8_S8_S8_EEEEZNS1_11reduce_implILb1ES3_PS9_SC_S9_12reduce_tupleIifEEE10hipError_tPvRmT1_T2_T3_mT4_P12ihipStream_tbEUlT_E0_NS1_11comp_targetILNS1_3genE0ELNS1_11target_archE4294967295ELNS1_3gpuE0ELNS1_3repE0EEENS1_30default_config_static_selectorELNS0_4arch9wavefront6targetE0EEEvSI_.has_dyn_sized_stack, 0
	.set _ZN7rocprim17ROCPRIM_400000_NS6detail17trampoline_kernelINS0_14default_configENS1_22reduce_config_selectorIN6thrust23THRUST_200600_302600_NS5tupleIbffNS6_9null_typeES8_S8_S8_S8_S8_S8_EEEEZNS1_11reduce_implILb1ES3_PS9_SC_S9_12reduce_tupleIifEEE10hipError_tPvRmT1_T2_T3_mT4_P12ihipStream_tbEUlT_E0_NS1_11comp_targetILNS1_3genE0ELNS1_11target_archE4294967295ELNS1_3gpuE0ELNS1_3repE0EEENS1_30default_config_static_selectorELNS0_4arch9wavefront6targetE0EEEvSI_.has_recursion, 0
	.set _ZN7rocprim17ROCPRIM_400000_NS6detail17trampoline_kernelINS0_14default_configENS1_22reduce_config_selectorIN6thrust23THRUST_200600_302600_NS5tupleIbffNS6_9null_typeES8_S8_S8_S8_S8_S8_EEEEZNS1_11reduce_implILb1ES3_PS9_SC_S9_12reduce_tupleIifEEE10hipError_tPvRmT1_T2_T3_mT4_P12ihipStream_tbEUlT_E0_NS1_11comp_targetILNS1_3genE0ELNS1_11target_archE4294967295ELNS1_3gpuE0ELNS1_3repE0EEENS1_30default_config_static_selectorELNS0_4arch9wavefront6targetE0EEEvSI_.has_indirect_call, 0
	.section	.AMDGPU.csdata,"",@progbits
; Kernel info:
; codeLenInByte = 0
; TotalNumSgprs: 0
; NumVgprs: 0
; ScratchSize: 0
; MemoryBound: 0
; FloatMode: 240
; IeeeMode: 1
; LDSByteSize: 0 bytes/workgroup (compile time only)
; SGPRBlocks: 0
; VGPRBlocks: 0
; NumSGPRsForWavesPerEU: 1
; NumVGPRsForWavesPerEU: 1
; Occupancy: 16
; WaveLimiterHint : 0
; COMPUTE_PGM_RSRC2:SCRATCH_EN: 0
; COMPUTE_PGM_RSRC2:USER_SGPR: 6
; COMPUTE_PGM_RSRC2:TRAP_HANDLER: 0
; COMPUTE_PGM_RSRC2:TGID_X_EN: 1
; COMPUTE_PGM_RSRC2:TGID_Y_EN: 0
; COMPUTE_PGM_RSRC2:TGID_Z_EN: 0
; COMPUTE_PGM_RSRC2:TIDIG_COMP_CNT: 0
	.section	.text._ZN7rocprim17ROCPRIM_400000_NS6detail17trampoline_kernelINS0_14default_configENS1_22reduce_config_selectorIN6thrust23THRUST_200600_302600_NS5tupleIbffNS6_9null_typeES8_S8_S8_S8_S8_S8_EEEEZNS1_11reduce_implILb1ES3_PS9_SC_S9_12reduce_tupleIifEEE10hipError_tPvRmT1_T2_T3_mT4_P12ihipStream_tbEUlT_E0_NS1_11comp_targetILNS1_3genE5ELNS1_11target_archE942ELNS1_3gpuE9ELNS1_3repE0EEENS1_30default_config_static_selectorELNS0_4arch9wavefront6targetE0EEEvSI_,"axG",@progbits,_ZN7rocprim17ROCPRIM_400000_NS6detail17trampoline_kernelINS0_14default_configENS1_22reduce_config_selectorIN6thrust23THRUST_200600_302600_NS5tupleIbffNS6_9null_typeES8_S8_S8_S8_S8_S8_EEEEZNS1_11reduce_implILb1ES3_PS9_SC_S9_12reduce_tupleIifEEE10hipError_tPvRmT1_T2_T3_mT4_P12ihipStream_tbEUlT_E0_NS1_11comp_targetILNS1_3genE5ELNS1_11target_archE942ELNS1_3gpuE9ELNS1_3repE0EEENS1_30default_config_static_selectorELNS0_4arch9wavefront6targetE0EEEvSI_,comdat
	.protected	_ZN7rocprim17ROCPRIM_400000_NS6detail17trampoline_kernelINS0_14default_configENS1_22reduce_config_selectorIN6thrust23THRUST_200600_302600_NS5tupleIbffNS6_9null_typeES8_S8_S8_S8_S8_S8_EEEEZNS1_11reduce_implILb1ES3_PS9_SC_S9_12reduce_tupleIifEEE10hipError_tPvRmT1_T2_T3_mT4_P12ihipStream_tbEUlT_E0_NS1_11comp_targetILNS1_3genE5ELNS1_11target_archE942ELNS1_3gpuE9ELNS1_3repE0EEENS1_30default_config_static_selectorELNS0_4arch9wavefront6targetE0EEEvSI_ ; -- Begin function _ZN7rocprim17ROCPRIM_400000_NS6detail17trampoline_kernelINS0_14default_configENS1_22reduce_config_selectorIN6thrust23THRUST_200600_302600_NS5tupleIbffNS6_9null_typeES8_S8_S8_S8_S8_S8_EEEEZNS1_11reduce_implILb1ES3_PS9_SC_S9_12reduce_tupleIifEEE10hipError_tPvRmT1_T2_T3_mT4_P12ihipStream_tbEUlT_E0_NS1_11comp_targetILNS1_3genE5ELNS1_11target_archE942ELNS1_3gpuE9ELNS1_3repE0EEENS1_30default_config_static_selectorELNS0_4arch9wavefront6targetE0EEEvSI_
	.globl	_ZN7rocprim17ROCPRIM_400000_NS6detail17trampoline_kernelINS0_14default_configENS1_22reduce_config_selectorIN6thrust23THRUST_200600_302600_NS5tupleIbffNS6_9null_typeES8_S8_S8_S8_S8_S8_EEEEZNS1_11reduce_implILb1ES3_PS9_SC_S9_12reduce_tupleIifEEE10hipError_tPvRmT1_T2_T3_mT4_P12ihipStream_tbEUlT_E0_NS1_11comp_targetILNS1_3genE5ELNS1_11target_archE942ELNS1_3gpuE9ELNS1_3repE0EEENS1_30default_config_static_selectorELNS0_4arch9wavefront6targetE0EEEvSI_
	.p2align	8
	.type	_ZN7rocprim17ROCPRIM_400000_NS6detail17trampoline_kernelINS0_14default_configENS1_22reduce_config_selectorIN6thrust23THRUST_200600_302600_NS5tupleIbffNS6_9null_typeES8_S8_S8_S8_S8_S8_EEEEZNS1_11reduce_implILb1ES3_PS9_SC_S9_12reduce_tupleIifEEE10hipError_tPvRmT1_T2_T3_mT4_P12ihipStream_tbEUlT_E0_NS1_11comp_targetILNS1_3genE5ELNS1_11target_archE942ELNS1_3gpuE9ELNS1_3repE0EEENS1_30default_config_static_selectorELNS0_4arch9wavefront6targetE0EEEvSI_,@function
_ZN7rocprim17ROCPRIM_400000_NS6detail17trampoline_kernelINS0_14default_configENS1_22reduce_config_selectorIN6thrust23THRUST_200600_302600_NS5tupleIbffNS6_9null_typeES8_S8_S8_S8_S8_S8_EEEEZNS1_11reduce_implILb1ES3_PS9_SC_S9_12reduce_tupleIifEEE10hipError_tPvRmT1_T2_T3_mT4_P12ihipStream_tbEUlT_E0_NS1_11comp_targetILNS1_3genE5ELNS1_11target_archE942ELNS1_3gpuE9ELNS1_3repE0EEENS1_30default_config_static_selectorELNS0_4arch9wavefront6targetE0EEEvSI_: ; @_ZN7rocprim17ROCPRIM_400000_NS6detail17trampoline_kernelINS0_14default_configENS1_22reduce_config_selectorIN6thrust23THRUST_200600_302600_NS5tupleIbffNS6_9null_typeES8_S8_S8_S8_S8_S8_EEEEZNS1_11reduce_implILb1ES3_PS9_SC_S9_12reduce_tupleIifEEE10hipError_tPvRmT1_T2_T3_mT4_P12ihipStream_tbEUlT_E0_NS1_11comp_targetILNS1_3genE5ELNS1_11target_archE942ELNS1_3gpuE9ELNS1_3repE0EEENS1_30default_config_static_selectorELNS0_4arch9wavefront6targetE0EEEvSI_
; %bb.0:
	.section	.rodata,"a",@progbits
	.p2align	6, 0x0
	.amdhsa_kernel _ZN7rocprim17ROCPRIM_400000_NS6detail17trampoline_kernelINS0_14default_configENS1_22reduce_config_selectorIN6thrust23THRUST_200600_302600_NS5tupleIbffNS6_9null_typeES8_S8_S8_S8_S8_S8_EEEEZNS1_11reduce_implILb1ES3_PS9_SC_S9_12reduce_tupleIifEEE10hipError_tPvRmT1_T2_T3_mT4_P12ihipStream_tbEUlT_E0_NS1_11comp_targetILNS1_3genE5ELNS1_11target_archE942ELNS1_3gpuE9ELNS1_3repE0EEENS1_30default_config_static_selectorELNS0_4arch9wavefront6targetE0EEEvSI_
		.amdhsa_group_segment_fixed_size 0
		.amdhsa_private_segment_fixed_size 0
		.amdhsa_kernarg_size 64
		.amdhsa_user_sgpr_count 6
		.amdhsa_user_sgpr_private_segment_buffer 1
		.amdhsa_user_sgpr_dispatch_ptr 0
		.amdhsa_user_sgpr_queue_ptr 0
		.amdhsa_user_sgpr_kernarg_segment_ptr 1
		.amdhsa_user_sgpr_dispatch_id 0
		.amdhsa_user_sgpr_flat_scratch_init 0
		.amdhsa_user_sgpr_private_segment_size 0
		.amdhsa_wavefront_size32 1
		.amdhsa_uses_dynamic_stack 0
		.amdhsa_system_sgpr_private_segment_wavefront_offset 0
		.amdhsa_system_sgpr_workgroup_id_x 1
		.amdhsa_system_sgpr_workgroup_id_y 0
		.amdhsa_system_sgpr_workgroup_id_z 0
		.amdhsa_system_sgpr_workgroup_info 0
		.amdhsa_system_vgpr_workitem_id 0
		.amdhsa_next_free_vgpr 1
		.amdhsa_next_free_sgpr 1
		.amdhsa_reserve_vcc 0
		.amdhsa_reserve_flat_scratch 0
		.amdhsa_float_round_mode_32 0
		.amdhsa_float_round_mode_16_64 0
		.amdhsa_float_denorm_mode_32 3
		.amdhsa_float_denorm_mode_16_64 3
		.amdhsa_dx10_clamp 1
		.amdhsa_ieee_mode 1
		.amdhsa_fp16_overflow 0
		.amdhsa_workgroup_processor_mode 1
		.amdhsa_memory_ordered 1
		.amdhsa_forward_progress 1
		.amdhsa_shared_vgpr_count 0
		.amdhsa_exception_fp_ieee_invalid_op 0
		.amdhsa_exception_fp_denorm_src 0
		.amdhsa_exception_fp_ieee_div_zero 0
		.amdhsa_exception_fp_ieee_overflow 0
		.amdhsa_exception_fp_ieee_underflow 0
		.amdhsa_exception_fp_ieee_inexact 0
		.amdhsa_exception_int_div_zero 0
	.end_amdhsa_kernel
	.section	.text._ZN7rocprim17ROCPRIM_400000_NS6detail17trampoline_kernelINS0_14default_configENS1_22reduce_config_selectorIN6thrust23THRUST_200600_302600_NS5tupleIbffNS6_9null_typeES8_S8_S8_S8_S8_S8_EEEEZNS1_11reduce_implILb1ES3_PS9_SC_S9_12reduce_tupleIifEEE10hipError_tPvRmT1_T2_T3_mT4_P12ihipStream_tbEUlT_E0_NS1_11comp_targetILNS1_3genE5ELNS1_11target_archE942ELNS1_3gpuE9ELNS1_3repE0EEENS1_30default_config_static_selectorELNS0_4arch9wavefront6targetE0EEEvSI_,"axG",@progbits,_ZN7rocprim17ROCPRIM_400000_NS6detail17trampoline_kernelINS0_14default_configENS1_22reduce_config_selectorIN6thrust23THRUST_200600_302600_NS5tupleIbffNS6_9null_typeES8_S8_S8_S8_S8_S8_EEEEZNS1_11reduce_implILb1ES3_PS9_SC_S9_12reduce_tupleIifEEE10hipError_tPvRmT1_T2_T3_mT4_P12ihipStream_tbEUlT_E0_NS1_11comp_targetILNS1_3genE5ELNS1_11target_archE942ELNS1_3gpuE9ELNS1_3repE0EEENS1_30default_config_static_selectorELNS0_4arch9wavefront6targetE0EEEvSI_,comdat
.Lfunc_end2:
	.size	_ZN7rocprim17ROCPRIM_400000_NS6detail17trampoline_kernelINS0_14default_configENS1_22reduce_config_selectorIN6thrust23THRUST_200600_302600_NS5tupleIbffNS6_9null_typeES8_S8_S8_S8_S8_S8_EEEEZNS1_11reduce_implILb1ES3_PS9_SC_S9_12reduce_tupleIifEEE10hipError_tPvRmT1_T2_T3_mT4_P12ihipStream_tbEUlT_E0_NS1_11comp_targetILNS1_3genE5ELNS1_11target_archE942ELNS1_3gpuE9ELNS1_3repE0EEENS1_30default_config_static_selectorELNS0_4arch9wavefront6targetE0EEEvSI_, .Lfunc_end2-_ZN7rocprim17ROCPRIM_400000_NS6detail17trampoline_kernelINS0_14default_configENS1_22reduce_config_selectorIN6thrust23THRUST_200600_302600_NS5tupleIbffNS6_9null_typeES8_S8_S8_S8_S8_S8_EEEEZNS1_11reduce_implILb1ES3_PS9_SC_S9_12reduce_tupleIifEEE10hipError_tPvRmT1_T2_T3_mT4_P12ihipStream_tbEUlT_E0_NS1_11comp_targetILNS1_3genE5ELNS1_11target_archE942ELNS1_3gpuE9ELNS1_3repE0EEENS1_30default_config_static_selectorELNS0_4arch9wavefront6targetE0EEEvSI_
                                        ; -- End function
	.set _ZN7rocprim17ROCPRIM_400000_NS6detail17trampoline_kernelINS0_14default_configENS1_22reduce_config_selectorIN6thrust23THRUST_200600_302600_NS5tupleIbffNS6_9null_typeES8_S8_S8_S8_S8_S8_EEEEZNS1_11reduce_implILb1ES3_PS9_SC_S9_12reduce_tupleIifEEE10hipError_tPvRmT1_T2_T3_mT4_P12ihipStream_tbEUlT_E0_NS1_11comp_targetILNS1_3genE5ELNS1_11target_archE942ELNS1_3gpuE9ELNS1_3repE0EEENS1_30default_config_static_selectorELNS0_4arch9wavefront6targetE0EEEvSI_.num_vgpr, 0
	.set _ZN7rocprim17ROCPRIM_400000_NS6detail17trampoline_kernelINS0_14default_configENS1_22reduce_config_selectorIN6thrust23THRUST_200600_302600_NS5tupleIbffNS6_9null_typeES8_S8_S8_S8_S8_S8_EEEEZNS1_11reduce_implILb1ES3_PS9_SC_S9_12reduce_tupleIifEEE10hipError_tPvRmT1_T2_T3_mT4_P12ihipStream_tbEUlT_E0_NS1_11comp_targetILNS1_3genE5ELNS1_11target_archE942ELNS1_3gpuE9ELNS1_3repE0EEENS1_30default_config_static_selectorELNS0_4arch9wavefront6targetE0EEEvSI_.num_agpr, 0
	.set _ZN7rocprim17ROCPRIM_400000_NS6detail17trampoline_kernelINS0_14default_configENS1_22reduce_config_selectorIN6thrust23THRUST_200600_302600_NS5tupleIbffNS6_9null_typeES8_S8_S8_S8_S8_S8_EEEEZNS1_11reduce_implILb1ES3_PS9_SC_S9_12reduce_tupleIifEEE10hipError_tPvRmT1_T2_T3_mT4_P12ihipStream_tbEUlT_E0_NS1_11comp_targetILNS1_3genE5ELNS1_11target_archE942ELNS1_3gpuE9ELNS1_3repE0EEENS1_30default_config_static_selectorELNS0_4arch9wavefront6targetE0EEEvSI_.numbered_sgpr, 0
	.set _ZN7rocprim17ROCPRIM_400000_NS6detail17trampoline_kernelINS0_14default_configENS1_22reduce_config_selectorIN6thrust23THRUST_200600_302600_NS5tupleIbffNS6_9null_typeES8_S8_S8_S8_S8_S8_EEEEZNS1_11reduce_implILb1ES3_PS9_SC_S9_12reduce_tupleIifEEE10hipError_tPvRmT1_T2_T3_mT4_P12ihipStream_tbEUlT_E0_NS1_11comp_targetILNS1_3genE5ELNS1_11target_archE942ELNS1_3gpuE9ELNS1_3repE0EEENS1_30default_config_static_selectorELNS0_4arch9wavefront6targetE0EEEvSI_.num_named_barrier, 0
	.set _ZN7rocprim17ROCPRIM_400000_NS6detail17trampoline_kernelINS0_14default_configENS1_22reduce_config_selectorIN6thrust23THRUST_200600_302600_NS5tupleIbffNS6_9null_typeES8_S8_S8_S8_S8_S8_EEEEZNS1_11reduce_implILb1ES3_PS9_SC_S9_12reduce_tupleIifEEE10hipError_tPvRmT1_T2_T3_mT4_P12ihipStream_tbEUlT_E0_NS1_11comp_targetILNS1_3genE5ELNS1_11target_archE942ELNS1_3gpuE9ELNS1_3repE0EEENS1_30default_config_static_selectorELNS0_4arch9wavefront6targetE0EEEvSI_.private_seg_size, 0
	.set _ZN7rocprim17ROCPRIM_400000_NS6detail17trampoline_kernelINS0_14default_configENS1_22reduce_config_selectorIN6thrust23THRUST_200600_302600_NS5tupleIbffNS6_9null_typeES8_S8_S8_S8_S8_S8_EEEEZNS1_11reduce_implILb1ES3_PS9_SC_S9_12reduce_tupleIifEEE10hipError_tPvRmT1_T2_T3_mT4_P12ihipStream_tbEUlT_E0_NS1_11comp_targetILNS1_3genE5ELNS1_11target_archE942ELNS1_3gpuE9ELNS1_3repE0EEENS1_30default_config_static_selectorELNS0_4arch9wavefront6targetE0EEEvSI_.uses_vcc, 0
	.set _ZN7rocprim17ROCPRIM_400000_NS6detail17trampoline_kernelINS0_14default_configENS1_22reduce_config_selectorIN6thrust23THRUST_200600_302600_NS5tupleIbffNS6_9null_typeES8_S8_S8_S8_S8_S8_EEEEZNS1_11reduce_implILb1ES3_PS9_SC_S9_12reduce_tupleIifEEE10hipError_tPvRmT1_T2_T3_mT4_P12ihipStream_tbEUlT_E0_NS1_11comp_targetILNS1_3genE5ELNS1_11target_archE942ELNS1_3gpuE9ELNS1_3repE0EEENS1_30default_config_static_selectorELNS0_4arch9wavefront6targetE0EEEvSI_.uses_flat_scratch, 0
	.set _ZN7rocprim17ROCPRIM_400000_NS6detail17trampoline_kernelINS0_14default_configENS1_22reduce_config_selectorIN6thrust23THRUST_200600_302600_NS5tupleIbffNS6_9null_typeES8_S8_S8_S8_S8_S8_EEEEZNS1_11reduce_implILb1ES3_PS9_SC_S9_12reduce_tupleIifEEE10hipError_tPvRmT1_T2_T3_mT4_P12ihipStream_tbEUlT_E0_NS1_11comp_targetILNS1_3genE5ELNS1_11target_archE942ELNS1_3gpuE9ELNS1_3repE0EEENS1_30default_config_static_selectorELNS0_4arch9wavefront6targetE0EEEvSI_.has_dyn_sized_stack, 0
	.set _ZN7rocprim17ROCPRIM_400000_NS6detail17trampoline_kernelINS0_14default_configENS1_22reduce_config_selectorIN6thrust23THRUST_200600_302600_NS5tupleIbffNS6_9null_typeES8_S8_S8_S8_S8_S8_EEEEZNS1_11reduce_implILb1ES3_PS9_SC_S9_12reduce_tupleIifEEE10hipError_tPvRmT1_T2_T3_mT4_P12ihipStream_tbEUlT_E0_NS1_11comp_targetILNS1_3genE5ELNS1_11target_archE942ELNS1_3gpuE9ELNS1_3repE0EEENS1_30default_config_static_selectorELNS0_4arch9wavefront6targetE0EEEvSI_.has_recursion, 0
	.set _ZN7rocprim17ROCPRIM_400000_NS6detail17trampoline_kernelINS0_14default_configENS1_22reduce_config_selectorIN6thrust23THRUST_200600_302600_NS5tupleIbffNS6_9null_typeES8_S8_S8_S8_S8_S8_EEEEZNS1_11reduce_implILb1ES3_PS9_SC_S9_12reduce_tupleIifEEE10hipError_tPvRmT1_T2_T3_mT4_P12ihipStream_tbEUlT_E0_NS1_11comp_targetILNS1_3genE5ELNS1_11target_archE942ELNS1_3gpuE9ELNS1_3repE0EEENS1_30default_config_static_selectorELNS0_4arch9wavefront6targetE0EEEvSI_.has_indirect_call, 0
	.section	.AMDGPU.csdata,"",@progbits
; Kernel info:
; codeLenInByte = 0
; TotalNumSgprs: 0
; NumVgprs: 0
; ScratchSize: 0
; MemoryBound: 0
; FloatMode: 240
; IeeeMode: 1
; LDSByteSize: 0 bytes/workgroup (compile time only)
; SGPRBlocks: 0
; VGPRBlocks: 0
; NumSGPRsForWavesPerEU: 1
; NumVGPRsForWavesPerEU: 1
; Occupancy: 16
; WaveLimiterHint : 0
; COMPUTE_PGM_RSRC2:SCRATCH_EN: 0
; COMPUTE_PGM_RSRC2:USER_SGPR: 6
; COMPUTE_PGM_RSRC2:TRAP_HANDLER: 0
; COMPUTE_PGM_RSRC2:TGID_X_EN: 1
; COMPUTE_PGM_RSRC2:TGID_Y_EN: 0
; COMPUTE_PGM_RSRC2:TGID_Z_EN: 0
; COMPUTE_PGM_RSRC2:TIDIG_COMP_CNT: 0
	.section	.text._ZN7rocprim17ROCPRIM_400000_NS6detail17trampoline_kernelINS0_14default_configENS1_22reduce_config_selectorIN6thrust23THRUST_200600_302600_NS5tupleIbffNS6_9null_typeES8_S8_S8_S8_S8_S8_EEEEZNS1_11reduce_implILb1ES3_PS9_SC_S9_12reduce_tupleIifEEE10hipError_tPvRmT1_T2_T3_mT4_P12ihipStream_tbEUlT_E0_NS1_11comp_targetILNS1_3genE4ELNS1_11target_archE910ELNS1_3gpuE8ELNS1_3repE0EEENS1_30default_config_static_selectorELNS0_4arch9wavefront6targetE0EEEvSI_,"axG",@progbits,_ZN7rocprim17ROCPRIM_400000_NS6detail17trampoline_kernelINS0_14default_configENS1_22reduce_config_selectorIN6thrust23THRUST_200600_302600_NS5tupleIbffNS6_9null_typeES8_S8_S8_S8_S8_S8_EEEEZNS1_11reduce_implILb1ES3_PS9_SC_S9_12reduce_tupleIifEEE10hipError_tPvRmT1_T2_T3_mT4_P12ihipStream_tbEUlT_E0_NS1_11comp_targetILNS1_3genE4ELNS1_11target_archE910ELNS1_3gpuE8ELNS1_3repE0EEENS1_30default_config_static_selectorELNS0_4arch9wavefront6targetE0EEEvSI_,comdat
	.protected	_ZN7rocprim17ROCPRIM_400000_NS6detail17trampoline_kernelINS0_14default_configENS1_22reduce_config_selectorIN6thrust23THRUST_200600_302600_NS5tupleIbffNS6_9null_typeES8_S8_S8_S8_S8_S8_EEEEZNS1_11reduce_implILb1ES3_PS9_SC_S9_12reduce_tupleIifEEE10hipError_tPvRmT1_T2_T3_mT4_P12ihipStream_tbEUlT_E0_NS1_11comp_targetILNS1_3genE4ELNS1_11target_archE910ELNS1_3gpuE8ELNS1_3repE0EEENS1_30default_config_static_selectorELNS0_4arch9wavefront6targetE0EEEvSI_ ; -- Begin function _ZN7rocprim17ROCPRIM_400000_NS6detail17trampoline_kernelINS0_14default_configENS1_22reduce_config_selectorIN6thrust23THRUST_200600_302600_NS5tupleIbffNS6_9null_typeES8_S8_S8_S8_S8_S8_EEEEZNS1_11reduce_implILb1ES3_PS9_SC_S9_12reduce_tupleIifEEE10hipError_tPvRmT1_T2_T3_mT4_P12ihipStream_tbEUlT_E0_NS1_11comp_targetILNS1_3genE4ELNS1_11target_archE910ELNS1_3gpuE8ELNS1_3repE0EEENS1_30default_config_static_selectorELNS0_4arch9wavefront6targetE0EEEvSI_
	.globl	_ZN7rocprim17ROCPRIM_400000_NS6detail17trampoline_kernelINS0_14default_configENS1_22reduce_config_selectorIN6thrust23THRUST_200600_302600_NS5tupleIbffNS6_9null_typeES8_S8_S8_S8_S8_S8_EEEEZNS1_11reduce_implILb1ES3_PS9_SC_S9_12reduce_tupleIifEEE10hipError_tPvRmT1_T2_T3_mT4_P12ihipStream_tbEUlT_E0_NS1_11comp_targetILNS1_3genE4ELNS1_11target_archE910ELNS1_3gpuE8ELNS1_3repE0EEENS1_30default_config_static_selectorELNS0_4arch9wavefront6targetE0EEEvSI_
	.p2align	8
	.type	_ZN7rocprim17ROCPRIM_400000_NS6detail17trampoline_kernelINS0_14default_configENS1_22reduce_config_selectorIN6thrust23THRUST_200600_302600_NS5tupleIbffNS6_9null_typeES8_S8_S8_S8_S8_S8_EEEEZNS1_11reduce_implILb1ES3_PS9_SC_S9_12reduce_tupleIifEEE10hipError_tPvRmT1_T2_T3_mT4_P12ihipStream_tbEUlT_E0_NS1_11comp_targetILNS1_3genE4ELNS1_11target_archE910ELNS1_3gpuE8ELNS1_3repE0EEENS1_30default_config_static_selectorELNS0_4arch9wavefront6targetE0EEEvSI_,@function
_ZN7rocprim17ROCPRIM_400000_NS6detail17trampoline_kernelINS0_14default_configENS1_22reduce_config_selectorIN6thrust23THRUST_200600_302600_NS5tupleIbffNS6_9null_typeES8_S8_S8_S8_S8_S8_EEEEZNS1_11reduce_implILb1ES3_PS9_SC_S9_12reduce_tupleIifEEE10hipError_tPvRmT1_T2_T3_mT4_P12ihipStream_tbEUlT_E0_NS1_11comp_targetILNS1_3genE4ELNS1_11target_archE910ELNS1_3gpuE8ELNS1_3repE0EEENS1_30default_config_static_selectorELNS0_4arch9wavefront6targetE0EEEvSI_: ; @_ZN7rocprim17ROCPRIM_400000_NS6detail17trampoline_kernelINS0_14default_configENS1_22reduce_config_selectorIN6thrust23THRUST_200600_302600_NS5tupleIbffNS6_9null_typeES8_S8_S8_S8_S8_S8_EEEEZNS1_11reduce_implILb1ES3_PS9_SC_S9_12reduce_tupleIifEEE10hipError_tPvRmT1_T2_T3_mT4_P12ihipStream_tbEUlT_E0_NS1_11comp_targetILNS1_3genE4ELNS1_11target_archE910ELNS1_3gpuE8ELNS1_3repE0EEENS1_30default_config_static_selectorELNS0_4arch9wavefront6targetE0EEEvSI_
; %bb.0:
	.section	.rodata,"a",@progbits
	.p2align	6, 0x0
	.amdhsa_kernel _ZN7rocprim17ROCPRIM_400000_NS6detail17trampoline_kernelINS0_14default_configENS1_22reduce_config_selectorIN6thrust23THRUST_200600_302600_NS5tupleIbffNS6_9null_typeES8_S8_S8_S8_S8_S8_EEEEZNS1_11reduce_implILb1ES3_PS9_SC_S9_12reduce_tupleIifEEE10hipError_tPvRmT1_T2_T3_mT4_P12ihipStream_tbEUlT_E0_NS1_11comp_targetILNS1_3genE4ELNS1_11target_archE910ELNS1_3gpuE8ELNS1_3repE0EEENS1_30default_config_static_selectorELNS0_4arch9wavefront6targetE0EEEvSI_
		.amdhsa_group_segment_fixed_size 0
		.amdhsa_private_segment_fixed_size 0
		.amdhsa_kernarg_size 64
		.amdhsa_user_sgpr_count 6
		.amdhsa_user_sgpr_private_segment_buffer 1
		.amdhsa_user_sgpr_dispatch_ptr 0
		.amdhsa_user_sgpr_queue_ptr 0
		.amdhsa_user_sgpr_kernarg_segment_ptr 1
		.amdhsa_user_sgpr_dispatch_id 0
		.amdhsa_user_sgpr_flat_scratch_init 0
		.amdhsa_user_sgpr_private_segment_size 0
		.amdhsa_wavefront_size32 1
		.amdhsa_uses_dynamic_stack 0
		.amdhsa_system_sgpr_private_segment_wavefront_offset 0
		.amdhsa_system_sgpr_workgroup_id_x 1
		.amdhsa_system_sgpr_workgroup_id_y 0
		.amdhsa_system_sgpr_workgroup_id_z 0
		.amdhsa_system_sgpr_workgroup_info 0
		.amdhsa_system_vgpr_workitem_id 0
		.amdhsa_next_free_vgpr 1
		.amdhsa_next_free_sgpr 1
		.amdhsa_reserve_vcc 0
		.amdhsa_reserve_flat_scratch 0
		.amdhsa_float_round_mode_32 0
		.amdhsa_float_round_mode_16_64 0
		.amdhsa_float_denorm_mode_32 3
		.amdhsa_float_denorm_mode_16_64 3
		.amdhsa_dx10_clamp 1
		.amdhsa_ieee_mode 1
		.amdhsa_fp16_overflow 0
		.amdhsa_workgroup_processor_mode 1
		.amdhsa_memory_ordered 1
		.amdhsa_forward_progress 1
		.amdhsa_shared_vgpr_count 0
		.amdhsa_exception_fp_ieee_invalid_op 0
		.amdhsa_exception_fp_denorm_src 0
		.amdhsa_exception_fp_ieee_div_zero 0
		.amdhsa_exception_fp_ieee_overflow 0
		.amdhsa_exception_fp_ieee_underflow 0
		.amdhsa_exception_fp_ieee_inexact 0
		.amdhsa_exception_int_div_zero 0
	.end_amdhsa_kernel
	.section	.text._ZN7rocprim17ROCPRIM_400000_NS6detail17trampoline_kernelINS0_14default_configENS1_22reduce_config_selectorIN6thrust23THRUST_200600_302600_NS5tupleIbffNS6_9null_typeES8_S8_S8_S8_S8_S8_EEEEZNS1_11reduce_implILb1ES3_PS9_SC_S9_12reduce_tupleIifEEE10hipError_tPvRmT1_T2_T3_mT4_P12ihipStream_tbEUlT_E0_NS1_11comp_targetILNS1_3genE4ELNS1_11target_archE910ELNS1_3gpuE8ELNS1_3repE0EEENS1_30default_config_static_selectorELNS0_4arch9wavefront6targetE0EEEvSI_,"axG",@progbits,_ZN7rocprim17ROCPRIM_400000_NS6detail17trampoline_kernelINS0_14default_configENS1_22reduce_config_selectorIN6thrust23THRUST_200600_302600_NS5tupleIbffNS6_9null_typeES8_S8_S8_S8_S8_S8_EEEEZNS1_11reduce_implILb1ES3_PS9_SC_S9_12reduce_tupleIifEEE10hipError_tPvRmT1_T2_T3_mT4_P12ihipStream_tbEUlT_E0_NS1_11comp_targetILNS1_3genE4ELNS1_11target_archE910ELNS1_3gpuE8ELNS1_3repE0EEENS1_30default_config_static_selectorELNS0_4arch9wavefront6targetE0EEEvSI_,comdat
.Lfunc_end3:
	.size	_ZN7rocprim17ROCPRIM_400000_NS6detail17trampoline_kernelINS0_14default_configENS1_22reduce_config_selectorIN6thrust23THRUST_200600_302600_NS5tupleIbffNS6_9null_typeES8_S8_S8_S8_S8_S8_EEEEZNS1_11reduce_implILb1ES3_PS9_SC_S9_12reduce_tupleIifEEE10hipError_tPvRmT1_T2_T3_mT4_P12ihipStream_tbEUlT_E0_NS1_11comp_targetILNS1_3genE4ELNS1_11target_archE910ELNS1_3gpuE8ELNS1_3repE0EEENS1_30default_config_static_selectorELNS0_4arch9wavefront6targetE0EEEvSI_, .Lfunc_end3-_ZN7rocprim17ROCPRIM_400000_NS6detail17trampoline_kernelINS0_14default_configENS1_22reduce_config_selectorIN6thrust23THRUST_200600_302600_NS5tupleIbffNS6_9null_typeES8_S8_S8_S8_S8_S8_EEEEZNS1_11reduce_implILb1ES3_PS9_SC_S9_12reduce_tupleIifEEE10hipError_tPvRmT1_T2_T3_mT4_P12ihipStream_tbEUlT_E0_NS1_11comp_targetILNS1_3genE4ELNS1_11target_archE910ELNS1_3gpuE8ELNS1_3repE0EEENS1_30default_config_static_selectorELNS0_4arch9wavefront6targetE0EEEvSI_
                                        ; -- End function
	.set _ZN7rocprim17ROCPRIM_400000_NS6detail17trampoline_kernelINS0_14default_configENS1_22reduce_config_selectorIN6thrust23THRUST_200600_302600_NS5tupleIbffNS6_9null_typeES8_S8_S8_S8_S8_S8_EEEEZNS1_11reduce_implILb1ES3_PS9_SC_S9_12reduce_tupleIifEEE10hipError_tPvRmT1_T2_T3_mT4_P12ihipStream_tbEUlT_E0_NS1_11comp_targetILNS1_3genE4ELNS1_11target_archE910ELNS1_3gpuE8ELNS1_3repE0EEENS1_30default_config_static_selectorELNS0_4arch9wavefront6targetE0EEEvSI_.num_vgpr, 0
	.set _ZN7rocprim17ROCPRIM_400000_NS6detail17trampoline_kernelINS0_14default_configENS1_22reduce_config_selectorIN6thrust23THRUST_200600_302600_NS5tupleIbffNS6_9null_typeES8_S8_S8_S8_S8_S8_EEEEZNS1_11reduce_implILb1ES3_PS9_SC_S9_12reduce_tupleIifEEE10hipError_tPvRmT1_T2_T3_mT4_P12ihipStream_tbEUlT_E0_NS1_11comp_targetILNS1_3genE4ELNS1_11target_archE910ELNS1_3gpuE8ELNS1_3repE0EEENS1_30default_config_static_selectorELNS0_4arch9wavefront6targetE0EEEvSI_.num_agpr, 0
	.set _ZN7rocprim17ROCPRIM_400000_NS6detail17trampoline_kernelINS0_14default_configENS1_22reduce_config_selectorIN6thrust23THRUST_200600_302600_NS5tupleIbffNS6_9null_typeES8_S8_S8_S8_S8_S8_EEEEZNS1_11reduce_implILb1ES3_PS9_SC_S9_12reduce_tupleIifEEE10hipError_tPvRmT1_T2_T3_mT4_P12ihipStream_tbEUlT_E0_NS1_11comp_targetILNS1_3genE4ELNS1_11target_archE910ELNS1_3gpuE8ELNS1_3repE0EEENS1_30default_config_static_selectorELNS0_4arch9wavefront6targetE0EEEvSI_.numbered_sgpr, 0
	.set _ZN7rocprim17ROCPRIM_400000_NS6detail17trampoline_kernelINS0_14default_configENS1_22reduce_config_selectorIN6thrust23THRUST_200600_302600_NS5tupleIbffNS6_9null_typeES8_S8_S8_S8_S8_S8_EEEEZNS1_11reduce_implILb1ES3_PS9_SC_S9_12reduce_tupleIifEEE10hipError_tPvRmT1_T2_T3_mT4_P12ihipStream_tbEUlT_E0_NS1_11comp_targetILNS1_3genE4ELNS1_11target_archE910ELNS1_3gpuE8ELNS1_3repE0EEENS1_30default_config_static_selectorELNS0_4arch9wavefront6targetE0EEEvSI_.num_named_barrier, 0
	.set _ZN7rocprim17ROCPRIM_400000_NS6detail17trampoline_kernelINS0_14default_configENS1_22reduce_config_selectorIN6thrust23THRUST_200600_302600_NS5tupleIbffNS6_9null_typeES8_S8_S8_S8_S8_S8_EEEEZNS1_11reduce_implILb1ES3_PS9_SC_S9_12reduce_tupleIifEEE10hipError_tPvRmT1_T2_T3_mT4_P12ihipStream_tbEUlT_E0_NS1_11comp_targetILNS1_3genE4ELNS1_11target_archE910ELNS1_3gpuE8ELNS1_3repE0EEENS1_30default_config_static_selectorELNS0_4arch9wavefront6targetE0EEEvSI_.private_seg_size, 0
	.set _ZN7rocprim17ROCPRIM_400000_NS6detail17trampoline_kernelINS0_14default_configENS1_22reduce_config_selectorIN6thrust23THRUST_200600_302600_NS5tupleIbffNS6_9null_typeES8_S8_S8_S8_S8_S8_EEEEZNS1_11reduce_implILb1ES3_PS9_SC_S9_12reduce_tupleIifEEE10hipError_tPvRmT1_T2_T3_mT4_P12ihipStream_tbEUlT_E0_NS1_11comp_targetILNS1_3genE4ELNS1_11target_archE910ELNS1_3gpuE8ELNS1_3repE0EEENS1_30default_config_static_selectorELNS0_4arch9wavefront6targetE0EEEvSI_.uses_vcc, 0
	.set _ZN7rocprim17ROCPRIM_400000_NS6detail17trampoline_kernelINS0_14default_configENS1_22reduce_config_selectorIN6thrust23THRUST_200600_302600_NS5tupleIbffNS6_9null_typeES8_S8_S8_S8_S8_S8_EEEEZNS1_11reduce_implILb1ES3_PS9_SC_S9_12reduce_tupleIifEEE10hipError_tPvRmT1_T2_T3_mT4_P12ihipStream_tbEUlT_E0_NS1_11comp_targetILNS1_3genE4ELNS1_11target_archE910ELNS1_3gpuE8ELNS1_3repE0EEENS1_30default_config_static_selectorELNS0_4arch9wavefront6targetE0EEEvSI_.uses_flat_scratch, 0
	.set _ZN7rocprim17ROCPRIM_400000_NS6detail17trampoline_kernelINS0_14default_configENS1_22reduce_config_selectorIN6thrust23THRUST_200600_302600_NS5tupleIbffNS6_9null_typeES8_S8_S8_S8_S8_S8_EEEEZNS1_11reduce_implILb1ES3_PS9_SC_S9_12reduce_tupleIifEEE10hipError_tPvRmT1_T2_T3_mT4_P12ihipStream_tbEUlT_E0_NS1_11comp_targetILNS1_3genE4ELNS1_11target_archE910ELNS1_3gpuE8ELNS1_3repE0EEENS1_30default_config_static_selectorELNS0_4arch9wavefront6targetE0EEEvSI_.has_dyn_sized_stack, 0
	.set _ZN7rocprim17ROCPRIM_400000_NS6detail17trampoline_kernelINS0_14default_configENS1_22reduce_config_selectorIN6thrust23THRUST_200600_302600_NS5tupleIbffNS6_9null_typeES8_S8_S8_S8_S8_S8_EEEEZNS1_11reduce_implILb1ES3_PS9_SC_S9_12reduce_tupleIifEEE10hipError_tPvRmT1_T2_T3_mT4_P12ihipStream_tbEUlT_E0_NS1_11comp_targetILNS1_3genE4ELNS1_11target_archE910ELNS1_3gpuE8ELNS1_3repE0EEENS1_30default_config_static_selectorELNS0_4arch9wavefront6targetE0EEEvSI_.has_recursion, 0
	.set _ZN7rocprim17ROCPRIM_400000_NS6detail17trampoline_kernelINS0_14default_configENS1_22reduce_config_selectorIN6thrust23THRUST_200600_302600_NS5tupleIbffNS6_9null_typeES8_S8_S8_S8_S8_S8_EEEEZNS1_11reduce_implILb1ES3_PS9_SC_S9_12reduce_tupleIifEEE10hipError_tPvRmT1_T2_T3_mT4_P12ihipStream_tbEUlT_E0_NS1_11comp_targetILNS1_3genE4ELNS1_11target_archE910ELNS1_3gpuE8ELNS1_3repE0EEENS1_30default_config_static_selectorELNS0_4arch9wavefront6targetE0EEEvSI_.has_indirect_call, 0
	.section	.AMDGPU.csdata,"",@progbits
; Kernel info:
; codeLenInByte = 0
; TotalNumSgprs: 0
; NumVgprs: 0
; ScratchSize: 0
; MemoryBound: 0
; FloatMode: 240
; IeeeMode: 1
; LDSByteSize: 0 bytes/workgroup (compile time only)
; SGPRBlocks: 0
; VGPRBlocks: 0
; NumSGPRsForWavesPerEU: 1
; NumVGPRsForWavesPerEU: 1
; Occupancy: 16
; WaveLimiterHint : 0
; COMPUTE_PGM_RSRC2:SCRATCH_EN: 0
; COMPUTE_PGM_RSRC2:USER_SGPR: 6
; COMPUTE_PGM_RSRC2:TRAP_HANDLER: 0
; COMPUTE_PGM_RSRC2:TGID_X_EN: 1
; COMPUTE_PGM_RSRC2:TGID_Y_EN: 0
; COMPUTE_PGM_RSRC2:TGID_Z_EN: 0
; COMPUTE_PGM_RSRC2:TIDIG_COMP_CNT: 0
	.section	.text._ZN7rocprim17ROCPRIM_400000_NS6detail17trampoline_kernelINS0_14default_configENS1_22reduce_config_selectorIN6thrust23THRUST_200600_302600_NS5tupleIbffNS6_9null_typeES8_S8_S8_S8_S8_S8_EEEEZNS1_11reduce_implILb1ES3_PS9_SC_S9_12reduce_tupleIifEEE10hipError_tPvRmT1_T2_T3_mT4_P12ihipStream_tbEUlT_E0_NS1_11comp_targetILNS1_3genE3ELNS1_11target_archE908ELNS1_3gpuE7ELNS1_3repE0EEENS1_30default_config_static_selectorELNS0_4arch9wavefront6targetE0EEEvSI_,"axG",@progbits,_ZN7rocprim17ROCPRIM_400000_NS6detail17trampoline_kernelINS0_14default_configENS1_22reduce_config_selectorIN6thrust23THRUST_200600_302600_NS5tupleIbffNS6_9null_typeES8_S8_S8_S8_S8_S8_EEEEZNS1_11reduce_implILb1ES3_PS9_SC_S9_12reduce_tupleIifEEE10hipError_tPvRmT1_T2_T3_mT4_P12ihipStream_tbEUlT_E0_NS1_11comp_targetILNS1_3genE3ELNS1_11target_archE908ELNS1_3gpuE7ELNS1_3repE0EEENS1_30default_config_static_selectorELNS0_4arch9wavefront6targetE0EEEvSI_,comdat
	.protected	_ZN7rocprim17ROCPRIM_400000_NS6detail17trampoline_kernelINS0_14default_configENS1_22reduce_config_selectorIN6thrust23THRUST_200600_302600_NS5tupleIbffNS6_9null_typeES8_S8_S8_S8_S8_S8_EEEEZNS1_11reduce_implILb1ES3_PS9_SC_S9_12reduce_tupleIifEEE10hipError_tPvRmT1_T2_T3_mT4_P12ihipStream_tbEUlT_E0_NS1_11comp_targetILNS1_3genE3ELNS1_11target_archE908ELNS1_3gpuE7ELNS1_3repE0EEENS1_30default_config_static_selectorELNS0_4arch9wavefront6targetE0EEEvSI_ ; -- Begin function _ZN7rocprim17ROCPRIM_400000_NS6detail17trampoline_kernelINS0_14default_configENS1_22reduce_config_selectorIN6thrust23THRUST_200600_302600_NS5tupleIbffNS6_9null_typeES8_S8_S8_S8_S8_S8_EEEEZNS1_11reduce_implILb1ES3_PS9_SC_S9_12reduce_tupleIifEEE10hipError_tPvRmT1_T2_T3_mT4_P12ihipStream_tbEUlT_E0_NS1_11comp_targetILNS1_3genE3ELNS1_11target_archE908ELNS1_3gpuE7ELNS1_3repE0EEENS1_30default_config_static_selectorELNS0_4arch9wavefront6targetE0EEEvSI_
	.globl	_ZN7rocprim17ROCPRIM_400000_NS6detail17trampoline_kernelINS0_14default_configENS1_22reduce_config_selectorIN6thrust23THRUST_200600_302600_NS5tupleIbffNS6_9null_typeES8_S8_S8_S8_S8_S8_EEEEZNS1_11reduce_implILb1ES3_PS9_SC_S9_12reduce_tupleIifEEE10hipError_tPvRmT1_T2_T3_mT4_P12ihipStream_tbEUlT_E0_NS1_11comp_targetILNS1_3genE3ELNS1_11target_archE908ELNS1_3gpuE7ELNS1_3repE0EEENS1_30default_config_static_selectorELNS0_4arch9wavefront6targetE0EEEvSI_
	.p2align	8
	.type	_ZN7rocprim17ROCPRIM_400000_NS6detail17trampoline_kernelINS0_14default_configENS1_22reduce_config_selectorIN6thrust23THRUST_200600_302600_NS5tupleIbffNS6_9null_typeES8_S8_S8_S8_S8_S8_EEEEZNS1_11reduce_implILb1ES3_PS9_SC_S9_12reduce_tupleIifEEE10hipError_tPvRmT1_T2_T3_mT4_P12ihipStream_tbEUlT_E0_NS1_11comp_targetILNS1_3genE3ELNS1_11target_archE908ELNS1_3gpuE7ELNS1_3repE0EEENS1_30default_config_static_selectorELNS0_4arch9wavefront6targetE0EEEvSI_,@function
_ZN7rocprim17ROCPRIM_400000_NS6detail17trampoline_kernelINS0_14default_configENS1_22reduce_config_selectorIN6thrust23THRUST_200600_302600_NS5tupleIbffNS6_9null_typeES8_S8_S8_S8_S8_S8_EEEEZNS1_11reduce_implILb1ES3_PS9_SC_S9_12reduce_tupleIifEEE10hipError_tPvRmT1_T2_T3_mT4_P12ihipStream_tbEUlT_E0_NS1_11comp_targetILNS1_3genE3ELNS1_11target_archE908ELNS1_3gpuE7ELNS1_3repE0EEENS1_30default_config_static_selectorELNS0_4arch9wavefront6targetE0EEEvSI_: ; @_ZN7rocprim17ROCPRIM_400000_NS6detail17trampoline_kernelINS0_14default_configENS1_22reduce_config_selectorIN6thrust23THRUST_200600_302600_NS5tupleIbffNS6_9null_typeES8_S8_S8_S8_S8_S8_EEEEZNS1_11reduce_implILb1ES3_PS9_SC_S9_12reduce_tupleIifEEE10hipError_tPvRmT1_T2_T3_mT4_P12ihipStream_tbEUlT_E0_NS1_11comp_targetILNS1_3genE3ELNS1_11target_archE908ELNS1_3gpuE7ELNS1_3repE0EEENS1_30default_config_static_selectorELNS0_4arch9wavefront6targetE0EEEvSI_
; %bb.0:
	.section	.rodata,"a",@progbits
	.p2align	6, 0x0
	.amdhsa_kernel _ZN7rocprim17ROCPRIM_400000_NS6detail17trampoline_kernelINS0_14default_configENS1_22reduce_config_selectorIN6thrust23THRUST_200600_302600_NS5tupleIbffNS6_9null_typeES8_S8_S8_S8_S8_S8_EEEEZNS1_11reduce_implILb1ES3_PS9_SC_S9_12reduce_tupleIifEEE10hipError_tPvRmT1_T2_T3_mT4_P12ihipStream_tbEUlT_E0_NS1_11comp_targetILNS1_3genE3ELNS1_11target_archE908ELNS1_3gpuE7ELNS1_3repE0EEENS1_30default_config_static_selectorELNS0_4arch9wavefront6targetE0EEEvSI_
		.amdhsa_group_segment_fixed_size 0
		.amdhsa_private_segment_fixed_size 0
		.amdhsa_kernarg_size 64
		.amdhsa_user_sgpr_count 6
		.amdhsa_user_sgpr_private_segment_buffer 1
		.amdhsa_user_sgpr_dispatch_ptr 0
		.amdhsa_user_sgpr_queue_ptr 0
		.amdhsa_user_sgpr_kernarg_segment_ptr 1
		.amdhsa_user_sgpr_dispatch_id 0
		.amdhsa_user_sgpr_flat_scratch_init 0
		.amdhsa_user_sgpr_private_segment_size 0
		.amdhsa_wavefront_size32 1
		.amdhsa_uses_dynamic_stack 0
		.amdhsa_system_sgpr_private_segment_wavefront_offset 0
		.amdhsa_system_sgpr_workgroup_id_x 1
		.amdhsa_system_sgpr_workgroup_id_y 0
		.amdhsa_system_sgpr_workgroup_id_z 0
		.amdhsa_system_sgpr_workgroup_info 0
		.amdhsa_system_vgpr_workitem_id 0
		.amdhsa_next_free_vgpr 1
		.amdhsa_next_free_sgpr 1
		.amdhsa_reserve_vcc 0
		.amdhsa_reserve_flat_scratch 0
		.amdhsa_float_round_mode_32 0
		.amdhsa_float_round_mode_16_64 0
		.amdhsa_float_denorm_mode_32 3
		.amdhsa_float_denorm_mode_16_64 3
		.amdhsa_dx10_clamp 1
		.amdhsa_ieee_mode 1
		.amdhsa_fp16_overflow 0
		.amdhsa_workgroup_processor_mode 1
		.amdhsa_memory_ordered 1
		.amdhsa_forward_progress 1
		.amdhsa_shared_vgpr_count 0
		.amdhsa_exception_fp_ieee_invalid_op 0
		.amdhsa_exception_fp_denorm_src 0
		.amdhsa_exception_fp_ieee_div_zero 0
		.amdhsa_exception_fp_ieee_overflow 0
		.amdhsa_exception_fp_ieee_underflow 0
		.amdhsa_exception_fp_ieee_inexact 0
		.amdhsa_exception_int_div_zero 0
	.end_amdhsa_kernel
	.section	.text._ZN7rocprim17ROCPRIM_400000_NS6detail17trampoline_kernelINS0_14default_configENS1_22reduce_config_selectorIN6thrust23THRUST_200600_302600_NS5tupleIbffNS6_9null_typeES8_S8_S8_S8_S8_S8_EEEEZNS1_11reduce_implILb1ES3_PS9_SC_S9_12reduce_tupleIifEEE10hipError_tPvRmT1_T2_T3_mT4_P12ihipStream_tbEUlT_E0_NS1_11comp_targetILNS1_3genE3ELNS1_11target_archE908ELNS1_3gpuE7ELNS1_3repE0EEENS1_30default_config_static_selectorELNS0_4arch9wavefront6targetE0EEEvSI_,"axG",@progbits,_ZN7rocprim17ROCPRIM_400000_NS6detail17trampoline_kernelINS0_14default_configENS1_22reduce_config_selectorIN6thrust23THRUST_200600_302600_NS5tupleIbffNS6_9null_typeES8_S8_S8_S8_S8_S8_EEEEZNS1_11reduce_implILb1ES3_PS9_SC_S9_12reduce_tupleIifEEE10hipError_tPvRmT1_T2_T3_mT4_P12ihipStream_tbEUlT_E0_NS1_11comp_targetILNS1_3genE3ELNS1_11target_archE908ELNS1_3gpuE7ELNS1_3repE0EEENS1_30default_config_static_selectorELNS0_4arch9wavefront6targetE0EEEvSI_,comdat
.Lfunc_end4:
	.size	_ZN7rocprim17ROCPRIM_400000_NS6detail17trampoline_kernelINS0_14default_configENS1_22reduce_config_selectorIN6thrust23THRUST_200600_302600_NS5tupleIbffNS6_9null_typeES8_S8_S8_S8_S8_S8_EEEEZNS1_11reduce_implILb1ES3_PS9_SC_S9_12reduce_tupleIifEEE10hipError_tPvRmT1_T2_T3_mT4_P12ihipStream_tbEUlT_E0_NS1_11comp_targetILNS1_3genE3ELNS1_11target_archE908ELNS1_3gpuE7ELNS1_3repE0EEENS1_30default_config_static_selectorELNS0_4arch9wavefront6targetE0EEEvSI_, .Lfunc_end4-_ZN7rocprim17ROCPRIM_400000_NS6detail17trampoline_kernelINS0_14default_configENS1_22reduce_config_selectorIN6thrust23THRUST_200600_302600_NS5tupleIbffNS6_9null_typeES8_S8_S8_S8_S8_S8_EEEEZNS1_11reduce_implILb1ES3_PS9_SC_S9_12reduce_tupleIifEEE10hipError_tPvRmT1_T2_T3_mT4_P12ihipStream_tbEUlT_E0_NS1_11comp_targetILNS1_3genE3ELNS1_11target_archE908ELNS1_3gpuE7ELNS1_3repE0EEENS1_30default_config_static_selectorELNS0_4arch9wavefront6targetE0EEEvSI_
                                        ; -- End function
	.set _ZN7rocprim17ROCPRIM_400000_NS6detail17trampoline_kernelINS0_14default_configENS1_22reduce_config_selectorIN6thrust23THRUST_200600_302600_NS5tupleIbffNS6_9null_typeES8_S8_S8_S8_S8_S8_EEEEZNS1_11reduce_implILb1ES3_PS9_SC_S9_12reduce_tupleIifEEE10hipError_tPvRmT1_T2_T3_mT4_P12ihipStream_tbEUlT_E0_NS1_11comp_targetILNS1_3genE3ELNS1_11target_archE908ELNS1_3gpuE7ELNS1_3repE0EEENS1_30default_config_static_selectorELNS0_4arch9wavefront6targetE0EEEvSI_.num_vgpr, 0
	.set _ZN7rocprim17ROCPRIM_400000_NS6detail17trampoline_kernelINS0_14default_configENS1_22reduce_config_selectorIN6thrust23THRUST_200600_302600_NS5tupleIbffNS6_9null_typeES8_S8_S8_S8_S8_S8_EEEEZNS1_11reduce_implILb1ES3_PS9_SC_S9_12reduce_tupleIifEEE10hipError_tPvRmT1_T2_T3_mT4_P12ihipStream_tbEUlT_E0_NS1_11comp_targetILNS1_3genE3ELNS1_11target_archE908ELNS1_3gpuE7ELNS1_3repE0EEENS1_30default_config_static_selectorELNS0_4arch9wavefront6targetE0EEEvSI_.num_agpr, 0
	.set _ZN7rocprim17ROCPRIM_400000_NS6detail17trampoline_kernelINS0_14default_configENS1_22reduce_config_selectorIN6thrust23THRUST_200600_302600_NS5tupleIbffNS6_9null_typeES8_S8_S8_S8_S8_S8_EEEEZNS1_11reduce_implILb1ES3_PS9_SC_S9_12reduce_tupleIifEEE10hipError_tPvRmT1_T2_T3_mT4_P12ihipStream_tbEUlT_E0_NS1_11comp_targetILNS1_3genE3ELNS1_11target_archE908ELNS1_3gpuE7ELNS1_3repE0EEENS1_30default_config_static_selectorELNS0_4arch9wavefront6targetE0EEEvSI_.numbered_sgpr, 0
	.set _ZN7rocprim17ROCPRIM_400000_NS6detail17trampoline_kernelINS0_14default_configENS1_22reduce_config_selectorIN6thrust23THRUST_200600_302600_NS5tupleIbffNS6_9null_typeES8_S8_S8_S8_S8_S8_EEEEZNS1_11reduce_implILb1ES3_PS9_SC_S9_12reduce_tupleIifEEE10hipError_tPvRmT1_T2_T3_mT4_P12ihipStream_tbEUlT_E0_NS1_11comp_targetILNS1_3genE3ELNS1_11target_archE908ELNS1_3gpuE7ELNS1_3repE0EEENS1_30default_config_static_selectorELNS0_4arch9wavefront6targetE0EEEvSI_.num_named_barrier, 0
	.set _ZN7rocprim17ROCPRIM_400000_NS6detail17trampoline_kernelINS0_14default_configENS1_22reduce_config_selectorIN6thrust23THRUST_200600_302600_NS5tupleIbffNS6_9null_typeES8_S8_S8_S8_S8_S8_EEEEZNS1_11reduce_implILb1ES3_PS9_SC_S9_12reduce_tupleIifEEE10hipError_tPvRmT1_T2_T3_mT4_P12ihipStream_tbEUlT_E0_NS1_11comp_targetILNS1_3genE3ELNS1_11target_archE908ELNS1_3gpuE7ELNS1_3repE0EEENS1_30default_config_static_selectorELNS0_4arch9wavefront6targetE0EEEvSI_.private_seg_size, 0
	.set _ZN7rocprim17ROCPRIM_400000_NS6detail17trampoline_kernelINS0_14default_configENS1_22reduce_config_selectorIN6thrust23THRUST_200600_302600_NS5tupleIbffNS6_9null_typeES8_S8_S8_S8_S8_S8_EEEEZNS1_11reduce_implILb1ES3_PS9_SC_S9_12reduce_tupleIifEEE10hipError_tPvRmT1_T2_T3_mT4_P12ihipStream_tbEUlT_E0_NS1_11comp_targetILNS1_3genE3ELNS1_11target_archE908ELNS1_3gpuE7ELNS1_3repE0EEENS1_30default_config_static_selectorELNS0_4arch9wavefront6targetE0EEEvSI_.uses_vcc, 0
	.set _ZN7rocprim17ROCPRIM_400000_NS6detail17trampoline_kernelINS0_14default_configENS1_22reduce_config_selectorIN6thrust23THRUST_200600_302600_NS5tupleIbffNS6_9null_typeES8_S8_S8_S8_S8_S8_EEEEZNS1_11reduce_implILb1ES3_PS9_SC_S9_12reduce_tupleIifEEE10hipError_tPvRmT1_T2_T3_mT4_P12ihipStream_tbEUlT_E0_NS1_11comp_targetILNS1_3genE3ELNS1_11target_archE908ELNS1_3gpuE7ELNS1_3repE0EEENS1_30default_config_static_selectorELNS0_4arch9wavefront6targetE0EEEvSI_.uses_flat_scratch, 0
	.set _ZN7rocprim17ROCPRIM_400000_NS6detail17trampoline_kernelINS0_14default_configENS1_22reduce_config_selectorIN6thrust23THRUST_200600_302600_NS5tupleIbffNS6_9null_typeES8_S8_S8_S8_S8_S8_EEEEZNS1_11reduce_implILb1ES3_PS9_SC_S9_12reduce_tupleIifEEE10hipError_tPvRmT1_T2_T3_mT4_P12ihipStream_tbEUlT_E0_NS1_11comp_targetILNS1_3genE3ELNS1_11target_archE908ELNS1_3gpuE7ELNS1_3repE0EEENS1_30default_config_static_selectorELNS0_4arch9wavefront6targetE0EEEvSI_.has_dyn_sized_stack, 0
	.set _ZN7rocprim17ROCPRIM_400000_NS6detail17trampoline_kernelINS0_14default_configENS1_22reduce_config_selectorIN6thrust23THRUST_200600_302600_NS5tupleIbffNS6_9null_typeES8_S8_S8_S8_S8_S8_EEEEZNS1_11reduce_implILb1ES3_PS9_SC_S9_12reduce_tupleIifEEE10hipError_tPvRmT1_T2_T3_mT4_P12ihipStream_tbEUlT_E0_NS1_11comp_targetILNS1_3genE3ELNS1_11target_archE908ELNS1_3gpuE7ELNS1_3repE0EEENS1_30default_config_static_selectorELNS0_4arch9wavefront6targetE0EEEvSI_.has_recursion, 0
	.set _ZN7rocprim17ROCPRIM_400000_NS6detail17trampoline_kernelINS0_14default_configENS1_22reduce_config_selectorIN6thrust23THRUST_200600_302600_NS5tupleIbffNS6_9null_typeES8_S8_S8_S8_S8_S8_EEEEZNS1_11reduce_implILb1ES3_PS9_SC_S9_12reduce_tupleIifEEE10hipError_tPvRmT1_T2_T3_mT4_P12ihipStream_tbEUlT_E0_NS1_11comp_targetILNS1_3genE3ELNS1_11target_archE908ELNS1_3gpuE7ELNS1_3repE0EEENS1_30default_config_static_selectorELNS0_4arch9wavefront6targetE0EEEvSI_.has_indirect_call, 0
	.section	.AMDGPU.csdata,"",@progbits
; Kernel info:
; codeLenInByte = 0
; TotalNumSgprs: 0
; NumVgprs: 0
; ScratchSize: 0
; MemoryBound: 0
; FloatMode: 240
; IeeeMode: 1
; LDSByteSize: 0 bytes/workgroup (compile time only)
; SGPRBlocks: 0
; VGPRBlocks: 0
; NumSGPRsForWavesPerEU: 1
; NumVGPRsForWavesPerEU: 1
; Occupancy: 16
; WaveLimiterHint : 0
; COMPUTE_PGM_RSRC2:SCRATCH_EN: 0
; COMPUTE_PGM_RSRC2:USER_SGPR: 6
; COMPUTE_PGM_RSRC2:TRAP_HANDLER: 0
; COMPUTE_PGM_RSRC2:TGID_X_EN: 1
; COMPUTE_PGM_RSRC2:TGID_Y_EN: 0
; COMPUTE_PGM_RSRC2:TGID_Z_EN: 0
; COMPUTE_PGM_RSRC2:TIDIG_COMP_CNT: 0
	.section	.text._ZN7rocprim17ROCPRIM_400000_NS6detail17trampoline_kernelINS0_14default_configENS1_22reduce_config_selectorIN6thrust23THRUST_200600_302600_NS5tupleIbffNS6_9null_typeES8_S8_S8_S8_S8_S8_EEEEZNS1_11reduce_implILb1ES3_PS9_SC_S9_12reduce_tupleIifEEE10hipError_tPvRmT1_T2_T3_mT4_P12ihipStream_tbEUlT_E0_NS1_11comp_targetILNS1_3genE2ELNS1_11target_archE906ELNS1_3gpuE6ELNS1_3repE0EEENS1_30default_config_static_selectorELNS0_4arch9wavefront6targetE0EEEvSI_,"axG",@progbits,_ZN7rocprim17ROCPRIM_400000_NS6detail17trampoline_kernelINS0_14default_configENS1_22reduce_config_selectorIN6thrust23THRUST_200600_302600_NS5tupleIbffNS6_9null_typeES8_S8_S8_S8_S8_S8_EEEEZNS1_11reduce_implILb1ES3_PS9_SC_S9_12reduce_tupleIifEEE10hipError_tPvRmT1_T2_T3_mT4_P12ihipStream_tbEUlT_E0_NS1_11comp_targetILNS1_3genE2ELNS1_11target_archE906ELNS1_3gpuE6ELNS1_3repE0EEENS1_30default_config_static_selectorELNS0_4arch9wavefront6targetE0EEEvSI_,comdat
	.protected	_ZN7rocprim17ROCPRIM_400000_NS6detail17trampoline_kernelINS0_14default_configENS1_22reduce_config_selectorIN6thrust23THRUST_200600_302600_NS5tupleIbffNS6_9null_typeES8_S8_S8_S8_S8_S8_EEEEZNS1_11reduce_implILb1ES3_PS9_SC_S9_12reduce_tupleIifEEE10hipError_tPvRmT1_T2_T3_mT4_P12ihipStream_tbEUlT_E0_NS1_11comp_targetILNS1_3genE2ELNS1_11target_archE906ELNS1_3gpuE6ELNS1_3repE0EEENS1_30default_config_static_selectorELNS0_4arch9wavefront6targetE0EEEvSI_ ; -- Begin function _ZN7rocprim17ROCPRIM_400000_NS6detail17trampoline_kernelINS0_14default_configENS1_22reduce_config_selectorIN6thrust23THRUST_200600_302600_NS5tupleIbffNS6_9null_typeES8_S8_S8_S8_S8_S8_EEEEZNS1_11reduce_implILb1ES3_PS9_SC_S9_12reduce_tupleIifEEE10hipError_tPvRmT1_T2_T3_mT4_P12ihipStream_tbEUlT_E0_NS1_11comp_targetILNS1_3genE2ELNS1_11target_archE906ELNS1_3gpuE6ELNS1_3repE0EEENS1_30default_config_static_selectorELNS0_4arch9wavefront6targetE0EEEvSI_
	.globl	_ZN7rocprim17ROCPRIM_400000_NS6detail17trampoline_kernelINS0_14default_configENS1_22reduce_config_selectorIN6thrust23THRUST_200600_302600_NS5tupleIbffNS6_9null_typeES8_S8_S8_S8_S8_S8_EEEEZNS1_11reduce_implILb1ES3_PS9_SC_S9_12reduce_tupleIifEEE10hipError_tPvRmT1_T2_T3_mT4_P12ihipStream_tbEUlT_E0_NS1_11comp_targetILNS1_3genE2ELNS1_11target_archE906ELNS1_3gpuE6ELNS1_3repE0EEENS1_30default_config_static_selectorELNS0_4arch9wavefront6targetE0EEEvSI_
	.p2align	8
	.type	_ZN7rocprim17ROCPRIM_400000_NS6detail17trampoline_kernelINS0_14default_configENS1_22reduce_config_selectorIN6thrust23THRUST_200600_302600_NS5tupleIbffNS6_9null_typeES8_S8_S8_S8_S8_S8_EEEEZNS1_11reduce_implILb1ES3_PS9_SC_S9_12reduce_tupleIifEEE10hipError_tPvRmT1_T2_T3_mT4_P12ihipStream_tbEUlT_E0_NS1_11comp_targetILNS1_3genE2ELNS1_11target_archE906ELNS1_3gpuE6ELNS1_3repE0EEENS1_30default_config_static_selectorELNS0_4arch9wavefront6targetE0EEEvSI_,@function
_ZN7rocprim17ROCPRIM_400000_NS6detail17trampoline_kernelINS0_14default_configENS1_22reduce_config_selectorIN6thrust23THRUST_200600_302600_NS5tupleIbffNS6_9null_typeES8_S8_S8_S8_S8_S8_EEEEZNS1_11reduce_implILb1ES3_PS9_SC_S9_12reduce_tupleIifEEE10hipError_tPvRmT1_T2_T3_mT4_P12ihipStream_tbEUlT_E0_NS1_11comp_targetILNS1_3genE2ELNS1_11target_archE906ELNS1_3gpuE6ELNS1_3repE0EEENS1_30default_config_static_selectorELNS0_4arch9wavefront6targetE0EEEvSI_: ; @_ZN7rocprim17ROCPRIM_400000_NS6detail17trampoline_kernelINS0_14default_configENS1_22reduce_config_selectorIN6thrust23THRUST_200600_302600_NS5tupleIbffNS6_9null_typeES8_S8_S8_S8_S8_S8_EEEEZNS1_11reduce_implILb1ES3_PS9_SC_S9_12reduce_tupleIifEEE10hipError_tPvRmT1_T2_T3_mT4_P12ihipStream_tbEUlT_E0_NS1_11comp_targetILNS1_3genE2ELNS1_11target_archE906ELNS1_3gpuE6ELNS1_3repE0EEENS1_30default_config_static_selectorELNS0_4arch9wavefront6targetE0EEEvSI_
; %bb.0:
	.section	.rodata,"a",@progbits
	.p2align	6, 0x0
	.amdhsa_kernel _ZN7rocprim17ROCPRIM_400000_NS6detail17trampoline_kernelINS0_14default_configENS1_22reduce_config_selectorIN6thrust23THRUST_200600_302600_NS5tupleIbffNS6_9null_typeES8_S8_S8_S8_S8_S8_EEEEZNS1_11reduce_implILb1ES3_PS9_SC_S9_12reduce_tupleIifEEE10hipError_tPvRmT1_T2_T3_mT4_P12ihipStream_tbEUlT_E0_NS1_11comp_targetILNS1_3genE2ELNS1_11target_archE906ELNS1_3gpuE6ELNS1_3repE0EEENS1_30default_config_static_selectorELNS0_4arch9wavefront6targetE0EEEvSI_
		.amdhsa_group_segment_fixed_size 0
		.amdhsa_private_segment_fixed_size 0
		.amdhsa_kernarg_size 64
		.amdhsa_user_sgpr_count 6
		.amdhsa_user_sgpr_private_segment_buffer 1
		.amdhsa_user_sgpr_dispatch_ptr 0
		.amdhsa_user_sgpr_queue_ptr 0
		.amdhsa_user_sgpr_kernarg_segment_ptr 1
		.amdhsa_user_sgpr_dispatch_id 0
		.amdhsa_user_sgpr_flat_scratch_init 0
		.amdhsa_user_sgpr_private_segment_size 0
		.amdhsa_wavefront_size32 1
		.amdhsa_uses_dynamic_stack 0
		.amdhsa_system_sgpr_private_segment_wavefront_offset 0
		.amdhsa_system_sgpr_workgroup_id_x 1
		.amdhsa_system_sgpr_workgroup_id_y 0
		.amdhsa_system_sgpr_workgroup_id_z 0
		.amdhsa_system_sgpr_workgroup_info 0
		.amdhsa_system_vgpr_workitem_id 0
		.amdhsa_next_free_vgpr 1
		.amdhsa_next_free_sgpr 1
		.amdhsa_reserve_vcc 0
		.amdhsa_reserve_flat_scratch 0
		.amdhsa_float_round_mode_32 0
		.amdhsa_float_round_mode_16_64 0
		.amdhsa_float_denorm_mode_32 3
		.amdhsa_float_denorm_mode_16_64 3
		.amdhsa_dx10_clamp 1
		.amdhsa_ieee_mode 1
		.amdhsa_fp16_overflow 0
		.amdhsa_workgroup_processor_mode 1
		.amdhsa_memory_ordered 1
		.amdhsa_forward_progress 1
		.amdhsa_shared_vgpr_count 0
		.amdhsa_exception_fp_ieee_invalid_op 0
		.amdhsa_exception_fp_denorm_src 0
		.amdhsa_exception_fp_ieee_div_zero 0
		.amdhsa_exception_fp_ieee_overflow 0
		.amdhsa_exception_fp_ieee_underflow 0
		.amdhsa_exception_fp_ieee_inexact 0
		.amdhsa_exception_int_div_zero 0
	.end_amdhsa_kernel
	.section	.text._ZN7rocprim17ROCPRIM_400000_NS6detail17trampoline_kernelINS0_14default_configENS1_22reduce_config_selectorIN6thrust23THRUST_200600_302600_NS5tupleIbffNS6_9null_typeES8_S8_S8_S8_S8_S8_EEEEZNS1_11reduce_implILb1ES3_PS9_SC_S9_12reduce_tupleIifEEE10hipError_tPvRmT1_T2_T3_mT4_P12ihipStream_tbEUlT_E0_NS1_11comp_targetILNS1_3genE2ELNS1_11target_archE906ELNS1_3gpuE6ELNS1_3repE0EEENS1_30default_config_static_selectorELNS0_4arch9wavefront6targetE0EEEvSI_,"axG",@progbits,_ZN7rocprim17ROCPRIM_400000_NS6detail17trampoline_kernelINS0_14default_configENS1_22reduce_config_selectorIN6thrust23THRUST_200600_302600_NS5tupleIbffNS6_9null_typeES8_S8_S8_S8_S8_S8_EEEEZNS1_11reduce_implILb1ES3_PS9_SC_S9_12reduce_tupleIifEEE10hipError_tPvRmT1_T2_T3_mT4_P12ihipStream_tbEUlT_E0_NS1_11comp_targetILNS1_3genE2ELNS1_11target_archE906ELNS1_3gpuE6ELNS1_3repE0EEENS1_30default_config_static_selectorELNS0_4arch9wavefront6targetE0EEEvSI_,comdat
.Lfunc_end5:
	.size	_ZN7rocprim17ROCPRIM_400000_NS6detail17trampoline_kernelINS0_14default_configENS1_22reduce_config_selectorIN6thrust23THRUST_200600_302600_NS5tupleIbffNS6_9null_typeES8_S8_S8_S8_S8_S8_EEEEZNS1_11reduce_implILb1ES3_PS9_SC_S9_12reduce_tupleIifEEE10hipError_tPvRmT1_T2_T3_mT4_P12ihipStream_tbEUlT_E0_NS1_11comp_targetILNS1_3genE2ELNS1_11target_archE906ELNS1_3gpuE6ELNS1_3repE0EEENS1_30default_config_static_selectorELNS0_4arch9wavefront6targetE0EEEvSI_, .Lfunc_end5-_ZN7rocprim17ROCPRIM_400000_NS6detail17trampoline_kernelINS0_14default_configENS1_22reduce_config_selectorIN6thrust23THRUST_200600_302600_NS5tupleIbffNS6_9null_typeES8_S8_S8_S8_S8_S8_EEEEZNS1_11reduce_implILb1ES3_PS9_SC_S9_12reduce_tupleIifEEE10hipError_tPvRmT1_T2_T3_mT4_P12ihipStream_tbEUlT_E0_NS1_11comp_targetILNS1_3genE2ELNS1_11target_archE906ELNS1_3gpuE6ELNS1_3repE0EEENS1_30default_config_static_selectorELNS0_4arch9wavefront6targetE0EEEvSI_
                                        ; -- End function
	.set _ZN7rocprim17ROCPRIM_400000_NS6detail17trampoline_kernelINS0_14default_configENS1_22reduce_config_selectorIN6thrust23THRUST_200600_302600_NS5tupleIbffNS6_9null_typeES8_S8_S8_S8_S8_S8_EEEEZNS1_11reduce_implILb1ES3_PS9_SC_S9_12reduce_tupleIifEEE10hipError_tPvRmT1_T2_T3_mT4_P12ihipStream_tbEUlT_E0_NS1_11comp_targetILNS1_3genE2ELNS1_11target_archE906ELNS1_3gpuE6ELNS1_3repE0EEENS1_30default_config_static_selectorELNS0_4arch9wavefront6targetE0EEEvSI_.num_vgpr, 0
	.set _ZN7rocprim17ROCPRIM_400000_NS6detail17trampoline_kernelINS0_14default_configENS1_22reduce_config_selectorIN6thrust23THRUST_200600_302600_NS5tupleIbffNS6_9null_typeES8_S8_S8_S8_S8_S8_EEEEZNS1_11reduce_implILb1ES3_PS9_SC_S9_12reduce_tupleIifEEE10hipError_tPvRmT1_T2_T3_mT4_P12ihipStream_tbEUlT_E0_NS1_11comp_targetILNS1_3genE2ELNS1_11target_archE906ELNS1_3gpuE6ELNS1_3repE0EEENS1_30default_config_static_selectorELNS0_4arch9wavefront6targetE0EEEvSI_.num_agpr, 0
	.set _ZN7rocprim17ROCPRIM_400000_NS6detail17trampoline_kernelINS0_14default_configENS1_22reduce_config_selectorIN6thrust23THRUST_200600_302600_NS5tupleIbffNS6_9null_typeES8_S8_S8_S8_S8_S8_EEEEZNS1_11reduce_implILb1ES3_PS9_SC_S9_12reduce_tupleIifEEE10hipError_tPvRmT1_T2_T3_mT4_P12ihipStream_tbEUlT_E0_NS1_11comp_targetILNS1_3genE2ELNS1_11target_archE906ELNS1_3gpuE6ELNS1_3repE0EEENS1_30default_config_static_selectorELNS0_4arch9wavefront6targetE0EEEvSI_.numbered_sgpr, 0
	.set _ZN7rocprim17ROCPRIM_400000_NS6detail17trampoline_kernelINS0_14default_configENS1_22reduce_config_selectorIN6thrust23THRUST_200600_302600_NS5tupleIbffNS6_9null_typeES8_S8_S8_S8_S8_S8_EEEEZNS1_11reduce_implILb1ES3_PS9_SC_S9_12reduce_tupleIifEEE10hipError_tPvRmT1_T2_T3_mT4_P12ihipStream_tbEUlT_E0_NS1_11comp_targetILNS1_3genE2ELNS1_11target_archE906ELNS1_3gpuE6ELNS1_3repE0EEENS1_30default_config_static_selectorELNS0_4arch9wavefront6targetE0EEEvSI_.num_named_barrier, 0
	.set _ZN7rocprim17ROCPRIM_400000_NS6detail17trampoline_kernelINS0_14default_configENS1_22reduce_config_selectorIN6thrust23THRUST_200600_302600_NS5tupleIbffNS6_9null_typeES8_S8_S8_S8_S8_S8_EEEEZNS1_11reduce_implILb1ES3_PS9_SC_S9_12reduce_tupleIifEEE10hipError_tPvRmT1_T2_T3_mT4_P12ihipStream_tbEUlT_E0_NS1_11comp_targetILNS1_3genE2ELNS1_11target_archE906ELNS1_3gpuE6ELNS1_3repE0EEENS1_30default_config_static_selectorELNS0_4arch9wavefront6targetE0EEEvSI_.private_seg_size, 0
	.set _ZN7rocprim17ROCPRIM_400000_NS6detail17trampoline_kernelINS0_14default_configENS1_22reduce_config_selectorIN6thrust23THRUST_200600_302600_NS5tupleIbffNS6_9null_typeES8_S8_S8_S8_S8_S8_EEEEZNS1_11reduce_implILb1ES3_PS9_SC_S9_12reduce_tupleIifEEE10hipError_tPvRmT1_T2_T3_mT4_P12ihipStream_tbEUlT_E0_NS1_11comp_targetILNS1_3genE2ELNS1_11target_archE906ELNS1_3gpuE6ELNS1_3repE0EEENS1_30default_config_static_selectorELNS0_4arch9wavefront6targetE0EEEvSI_.uses_vcc, 0
	.set _ZN7rocprim17ROCPRIM_400000_NS6detail17trampoline_kernelINS0_14default_configENS1_22reduce_config_selectorIN6thrust23THRUST_200600_302600_NS5tupleIbffNS6_9null_typeES8_S8_S8_S8_S8_S8_EEEEZNS1_11reduce_implILb1ES3_PS9_SC_S9_12reduce_tupleIifEEE10hipError_tPvRmT1_T2_T3_mT4_P12ihipStream_tbEUlT_E0_NS1_11comp_targetILNS1_3genE2ELNS1_11target_archE906ELNS1_3gpuE6ELNS1_3repE0EEENS1_30default_config_static_selectorELNS0_4arch9wavefront6targetE0EEEvSI_.uses_flat_scratch, 0
	.set _ZN7rocprim17ROCPRIM_400000_NS6detail17trampoline_kernelINS0_14default_configENS1_22reduce_config_selectorIN6thrust23THRUST_200600_302600_NS5tupleIbffNS6_9null_typeES8_S8_S8_S8_S8_S8_EEEEZNS1_11reduce_implILb1ES3_PS9_SC_S9_12reduce_tupleIifEEE10hipError_tPvRmT1_T2_T3_mT4_P12ihipStream_tbEUlT_E0_NS1_11comp_targetILNS1_3genE2ELNS1_11target_archE906ELNS1_3gpuE6ELNS1_3repE0EEENS1_30default_config_static_selectorELNS0_4arch9wavefront6targetE0EEEvSI_.has_dyn_sized_stack, 0
	.set _ZN7rocprim17ROCPRIM_400000_NS6detail17trampoline_kernelINS0_14default_configENS1_22reduce_config_selectorIN6thrust23THRUST_200600_302600_NS5tupleIbffNS6_9null_typeES8_S8_S8_S8_S8_S8_EEEEZNS1_11reduce_implILb1ES3_PS9_SC_S9_12reduce_tupleIifEEE10hipError_tPvRmT1_T2_T3_mT4_P12ihipStream_tbEUlT_E0_NS1_11comp_targetILNS1_3genE2ELNS1_11target_archE906ELNS1_3gpuE6ELNS1_3repE0EEENS1_30default_config_static_selectorELNS0_4arch9wavefront6targetE0EEEvSI_.has_recursion, 0
	.set _ZN7rocprim17ROCPRIM_400000_NS6detail17trampoline_kernelINS0_14default_configENS1_22reduce_config_selectorIN6thrust23THRUST_200600_302600_NS5tupleIbffNS6_9null_typeES8_S8_S8_S8_S8_S8_EEEEZNS1_11reduce_implILb1ES3_PS9_SC_S9_12reduce_tupleIifEEE10hipError_tPvRmT1_T2_T3_mT4_P12ihipStream_tbEUlT_E0_NS1_11comp_targetILNS1_3genE2ELNS1_11target_archE906ELNS1_3gpuE6ELNS1_3repE0EEENS1_30default_config_static_selectorELNS0_4arch9wavefront6targetE0EEEvSI_.has_indirect_call, 0
	.section	.AMDGPU.csdata,"",@progbits
; Kernel info:
; codeLenInByte = 0
; TotalNumSgprs: 0
; NumVgprs: 0
; ScratchSize: 0
; MemoryBound: 0
; FloatMode: 240
; IeeeMode: 1
; LDSByteSize: 0 bytes/workgroup (compile time only)
; SGPRBlocks: 0
; VGPRBlocks: 0
; NumSGPRsForWavesPerEU: 1
; NumVGPRsForWavesPerEU: 1
; Occupancy: 16
; WaveLimiterHint : 0
; COMPUTE_PGM_RSRC2:SCRATCH_EN: 0
; COMPUTE_PGM_RSRC2:USER_SGPR: 6
; COMPUTE_PGM_RSRC2:TRAP_HANDLER: 0
; COMPUTE_PGM_RSRC2:TGID_X_EN: 1
; COMPUTE_PGM_RSRC2:TGID_Y_EN: 0
; COMPUTE_PGM_RSRC2:TGID_Z_EN: 0
; COMPUTE_PGM_RSRC2:TIDIG_COMP_CNT: 0
	.section	.text._ZN7rocprim17ROCPRIM_400000_NS6detail17trampoline_kernelINS0_14default_configENS1_22reduce_config_selectorIN6thrust23THRUST_200600_302600_NS5tupleIbffNS6_9null_typeES8_S8_S8_S8_S8_S8_EEEEZNS1_11reduce_implILb1ES3_PS9_SC_S9_12reduce_tupleIifEEE10hipError_tPvRmT1_T2_T3_mT4_P12ihipStream_tbEUlT_E0_NS1_11comp_targetILNS1_3genE10ELNS1_11target_archE1201ELNS1_3gpuE5ELNS1_3repE0EEENS1_30default_config_static_selectorELNS0_4arch9wavefront6targetE0EEEvSI_,"axG",@progbits,_ZN7rocprim17ROCPRIM_400000_NS6detail17trampoline_kernelINS0_14default_configENS1_22reduce_config_selectorIN6thrust23THRUST_200600_302600_NS5tupleIbffNS6_9null_typeES8_S8_S8_S8_S8_S8_EEEEZNS1_11reduce_implILb1ES3_PS9_SC_S9_12reduce_tupleIifEEE10hipError_tPvRmT1_T2_T3_mT4_P12ihipStream_tbEUlT_E0_NS1_11comp_targetILNS1_3genE10ELNS1_11target_archE1201ELNS1_3gpuE5ELNS1_3repE0EEENS1_30default_config_static_selectorELNS0_4arch9wavefront6targetE0EEEvSI_,comdat
	.protected	_ZN7rocprim17ROCPRIM_400000_NS6detail17trampoline_kernelINS0_14default_configENS1_22reduce_config_selectorIN6thrust23THRUST_200600_302600_NS5tupleIbffNS6_9null_typeES8_S8_S8_S8_S8_S8_EEEEZNS1_11reduce_implILb1ES3_PS9_SC_S9_12reduce_tupleIifEEE10hipError_tPvRmT1_T2_T3_mT4_P12ihipStream_tbEUlT_E0_NS1_11comp_targetILNS1_3genE10ELNS1_11target_archE1201ELNS1_3gpuE5ELNS1_3repE0EEENS1_30default_config_static_selectorELNS0_4arch9wavefront6targetE0EEEvSI_ ; -- Begin function _ZN7rocprim17ROCPRIM_400000_NS6detail17trampoline_kernelINS0_14default_configENS1_22reduce_config_selectorIN6thrust23THRUST_200600_302600_NS5tupleIbffNS6_9null_typeES8_S8_S8_S8_S8_S8_EEEEZNS1_11reduce_implILb1ES3_PS9_SC_S9_12reduce_tupleIifEEE10hipError_tPvRmT1_T2_T3_mT4_P12ihipStream_tbEUlT_E0_NS1_11comp_targetILNS1_3genE10ELNS1_11target_archE1201ELNS1_3gpuE5ELNS1_3repE0EEENS1_30default_config_static_selectorELNS0_4arch9wavefront6targetE0EEEvSI_
	.globl	_ZN7rocprim17ROCPRIM_400000_NS6detail17trampoline_kernelINS0_14default_configENS1_22reduce_config_selectorIN6thrust23THRUST_200600_302600_NS5tupleIbffNS6_9null_typeES8_S8_S8_S8_S8_S8_EEEEZNS1_11reduce_implILb1ES3_PS9_SC_S9_12reduce_tupleIifEEE10hipError_tPvRmT1_T2_T3_mT4_P12ihipStream_tbEUlT_E0_NS1_11comp_targetILNS1_3genE10ELNS1_11target_archE1201ELNS1_3gpuE5ELNS1_3repE0EEENS1_30default_config_static_selectorELNS0_4arch9wavefront6targetE0EEEvSI_
	.p2align	8
	.type	_ZN7rocprim17ROCPRIM_400000_NS6detail17trampoline_kernelINS0_14default_configENS1_22reduce_config_selectorIN6thrust23THRUST_200600_302600_NS5tupleIbffNS6_9null_typeES8_S8_S8_S8_S8_S8_EEEEZNS1_11reduce_implILb1ES3_PS9_SC_S9_12reduce_tupleIifEEE10hipError_tPvRmT1_T2_T3_mT4_P12ihipStream_tbEUlT_E0_NS1_11comp_targetILNS1_3genE10ELNS1_11target_archE1201ELNS1_3gpuE5ELNS1_3repE0EEENS1_30default_config_static_selectorELNS0_4arch9wavefront6targetE0EEEvSI_,@function
_ZN7rocprim17ROCPRIM_400000_NS6detail17trampoline_kernelINS0_14default_configENS1_22reduce_config_selectorIN6thrust23THRUST_200600_302600_NS5tupleIbffNS6_9null_typeES8_S8_S8_S8_S8_S8_EEEEZNS1_11reduce_implILb1ES3_PS9_SC_S9_12reduce_tupleIifEEE10hipError_tPvRmT1_T2_T3_mT4_P12ihipStream_tbEUlT_E0_NS1_11comp_targetILNS1_3genE10ELNS1_11target_archE1201ELNS1_3gpuE5ELNS1_3repE0EEENS1_30default_config_static_selectorELNS0_4arch9wavefront6targetE0EEEvSI_: ; @_ZN7rocprim17ROCPRIM_400000_NS6detail17trampoline_kernelINS0_14default_configENS1_22reduce_config_selectorIN6thrust23THRUST_200600_302600_NS5tupleIbffNS6_9null_typeES8_S8_S8_S8_S8_S8_EEEEZNS1_11reduce_implILb1ES3_PS9_SC_S9_12reduce_tupleIifEEE10hipError_tPvRmT1_T2_T3_mT4_P12ihipStream_tbEUlT_E0_NS1_11comp_targetILNS1_3genE10ELNS1_11target_archE1201ELNS1_3gpuE5ELNS1_3repE0EEENS1_30default_config_static_selectorELNS0_4arch9wavefront6targetE0EEEvSI_
; %bb.0:
	.section	.rodata,"a",@progbits
	.p2align	6, 0x0
	.amdhsa_kernel _ZN7rocprim17ROCPRIM_400000_NS6detail17trampoline_kernelINS0_14default_configENS1_22reduce_config_selectorIN6thrust23THRUST_200600_302600_NS5tupleIbffNS6_9null_typeES8_S8_S8_S8_S8_S8_EEEEZNS1_11reduce_implILb1ES3_PS9_SC_S9_12reduce_tupleIifEEE10hipError_tPvRmT1_T2_T3_mT4_P12ihipStream_tbEUlT_E0_NS1_11comp_targetILNS1_3genE10ELNS1_11target_archE1201ELNS1_3gpuE5ELNS1_3repE0EEENS1_30default_config_static_selectorELNS0_4arch9wavefront6targetE0EEEvSI_
		.amdhsa_group_segment_fixed_size 0
		.amdhsa_private_segment_fixed_size 0
		.amdhsa_kernarg_size 64
		.amdhsa_user_sgpr_count 6
		.amdhsa_user_sgpr_private_segment_buffer 1
		.amdhsa_user_sgpr_dispatch_ptr 0
		.amdhsa_user_sgpr_queue_ptr 0
		.amdhsa_user_sgpr_kernarg_segment_ptr 1
		.amdhsa_user_sgpr_dispatch_id 0
		.amdhsa_user_sgpr_flat_scratch_init 0
		.amdhsa_user_sgpr_private_segment_size 0
		.amdhsa_wavefront_size32 1
		.amdhsa_uses_dynamic_stack 0
		.amdhsa_system_sgpr_private_segment_wavefront_offset 0
		.amdhsa_system_sgpr_workgroup_id_x 1
		.amdhsa_system_sgpr_workgroup_id_y 0
		.amdhsa_system_sgpr_workgroup_id_z 0
		.amdhsa_system_sgpr_workgroup_info 0
		.amdhsa_system_vgpr_workitem_id 0
		.amdhsa_next_free_vgpr 1
		.amdhsa_next_free_sgpr 1
		.amdhsa_reserve_vcc 0
		.amdhsa_reserve_flat_scratch 0
		.amdhsa_float_round_mode_32 0
		.amdhsa_float_round_mode_16_64 0
		.amdhsa_float_denorm_mode_32 3
		.amdhsa_float_denorm_mode_16_64 3
		.amdhsa_dx10_clamp 1
		.amdhsa_ieee_mode 1
		.amdhsa_fp16_overflow 0
		.amdhsa_workgroup_processor_mode 1
		.amdhsa_memory_ordered 1
		.amdhsa_forward_progress 1
		.amdhsa_shared_vgpr_count 0
		.amdhsa_exception_fp_ieee_invalid_op 0
		.amdhsa_exception_fp_denorm_src 0
		.amdhsa_exception_fp_ieee_div_zero 0
		.amdhsa_exception_fp_ieee_overflow 0
		.amdhsa_exception_fp_ieee_underflow 0
		.amdhsa_exception_fp_ieee_inexact 0
		.amdhsa_exception_int_div_zero 0
	.end_amdhsa_kernel
	.section	.text._ZN7rocprim17ROCPRIM_400000_NS6detail17trampoline_kernelINS0_14default_configENS1_22reduce_config_selectorIN6thrust23THRUST_200600_302600_NS5tupleIbffNS6_9null_typeES8_S8_S8_S8_S8_S8_EEEEZNS1_11reduce_implILb1ES3_PS9_SC_S9_12reduce_tupleIifEEE10hipError_tPvRmT1_T2_T3_mT4_P12ihipStream_tbEUlT_E0_NS1_11comp_targetILNS1_3genE10ELNS1_11target_archE1201ELNS1_3gpuE5ELNS1_3repE0EEENS1_30default_config_static_selectorELNS0_4arch9wavefront6targetE0EEEvSI_,"axG",@progbits,_ZN7rocprim17ROCPRIM_400000_NS6detail17trampoline_kernelINS0_14default_configENS1_22reduce_config_selectorIN6thrust23THRUST_200600_302600_NS5tupleIbffNS6_9null_typeES8_S8_S8_S8_S8_S8_EEEEZNS1_11reduce_implILb1ES3_PS9_SC_S9_12reduce_tupleIifEEE10hipError_tPvRmT1_T2_T3_mT4_P12ihipStream_tbEUlT_E0_NS1_11comp_targetILNS1_3genE10ELNS1_11target_archE1201ELNS1_3gpuE5ELNS1_3repE0EEENS1_30default_config_static_selectorELNS0_4arch9wavefront6targetE0EEEvSI_,comdat
.Lfunc_end6:
	.size	_ZN7rocprim17ROCPRIM_400000_NS6detail17trampoline_kernelINS0_14default_configENS1_22reduce_config_selectorIN6thrust23THRUST_200600_302600_NS5tupleIbffNS6_9null_typeES8_S8_S8_S8_S8_S8_EEEEZNS1_11reduce_implILb1ES3_PS9_SC_S9_12reduce_tupleIifEEE10hipError_tPvRmT1_T2_T3_mT4_P12ihipStream_tbEUlT_E0_NS1_11comp_targetILNS1_3genE10ELNS1_11target_archE1201ELNS1_3gpuE5ELNS1_3repE0EEENS1_30default_config_static_selectorELNS0_4arch9wavefront6targetE0EEEvSI_, .Lfunc_end6-_ZN7rocprim17ROCPRIM_400000_NS6detail17trampoline_kernelINS0_14default_configENS1_22reduce_config_selectorIN6thrust23THRUST_200600_302600_NS5tupleIbffNS6_9null_typeES8_S8_S8_S8_S8_S8_EEEEZNS1_11reduce_implILb1ES3_PS9_SC_S9_12reduce_tupleIifEEE10hipError_tPvRmT1_T2_T3_mT4_P12ihipStream_tbEUlT_E0_NS1_11comp_targetILNS1_3genE10ELNS1_11target_archE1201ELNS1_3gpuE5ELNS1_3repE0EEENS1_30default_config_static_selectorELNS0_4arch9wavefront6targetE0EEEvSI_
                                        ; -- End function
	.set _ZN7rocprim17ROCPRIM_400000_NS6detail17trampoline_kernelINS0_14default_configENS1_22reduce_config_selectorIN6thrust23THRUST_200600_302600_NS5tupleIbffNS6_9null_typeES8_S8_S8_S8_S8_S8_EEEEZNS1_11reduce_implILb1ES3_PS9_SC_S9_12reduce_tupleIifEEE10hipError_tPvRmT1_T2_T3_mT4_P12ihipStream_tbEUlT_E0_NS1_11comp_targetILNS1_3genE10ELNS1_11target_archE1201ELNS1_3gpuE5ELNS1_3repE0EEENS1_30default_config_static_selectorELNS0_4arch9wavefront6targetE0EEEvSI_.num_vgpr, 0
	.set _ZN7rocprim17ROCPRIM_400000_NS6detail17trampoline_kernelINS0_14default_configENS1_22reduce_config_selectorIN6thrust23THRUST_200600_302600_NS5tupleIbffNS6_9null_typeES8_S8_S8_S8_S8_S8_EEEEZNS1_11reduce_implILb1ES3_PS9_SC_S9_12reduce_tupleIifEEE10hipError_tPvRmT1_T2_T3_mT4_P12ihipStream_tbEUlT_E0_NS1_11comp_targetILNS1_3genE10ELNS1_11target_archE1201ELNS1_3gpuE5ELNS1_3repE0EEENS1_30default_config_static_selectorELNS0_4arch9wavefront6targetE0EEEvSI_.num_agpr, 0
	.set _ZN7rocprim17ROCPRIM_400000_NS6detail17trampoline_kernelINS0_14default_configENS1_22reduce_config_selectorIN6thrust23THRUST_200600_302600_NS5tupleIbffNS6_9null_typeES8_S8_S8_S8_S8_S8_EEEEZNS1_11reduce_implILb1ES3_PS9_SC_S9_12reduce_tupleIifEEE10hipError_tPvRmT1_T2_T3_mT4_P12ihipStream_tbEUlT_E0_NS1_11comp_targetILNS1_3genE10ELNS1_11target_archE1201ELNS1_3gpuE5ELNS1_3repE0EEENS1_30default_config_static_selectorELNS0_4arch9wavefront6targetE0EEEvSI_.numbered_sgpr, 0
	.set _ZN7rocprim17ROCPRIM_400000_NS6detail17trampoline_kernelINS0_14default_configENS1_22reduce_config_selectorIN6thrust23THRUST_200600_302600_NS5tupleIbffNS6_9null_typeES8_S8_S8_S8_S8_S8_EEEEZNS1_11reduce_implILb1ES3_PS9_SC_S9_12reduce_tupleIifEEE10hipError_tPvRmT1_T2_T3_mT4_P12ihipStream_tbEUlT_E0_NS1_11comp_targetILNS1_3genE10ELNS1_11target_archE1201ELNS1_3gpuE5ELNS1_3repE0EEENS1_30default_config_static_selectorELNS0_4arch9wavefront6targetE0EEEvSI_.num_named_barrier, 0
	.set _ZN7rocprim17ROCPRIM_400000_NS6detail17trampoline_kernelINS0_14default_configENS1_22reduce_config_selectorIN6thrust23THRUST_200600_302600_NS5tupleIbffNS6_9null_typeES8_S8_S8_S8_S8_S8_EEEEZNS1_11reduce_implILb1ES3_PS9_SC_S9_12reduce_tupleIifEEE10hipError_tPvRmT1_T2_T3_mT4_P12ihipStream_tbEUlT_E0_NS1_11comp_targetILNS1_3genE10ELNS1_11target_archE1201ELNS1_3gpuE5ELNS1_3repE0EEENS1_30default_config_static_selectorELNS0_4arch9wavefront6targetE0EEEvSI_.private_seg_size, 0
	.set _ZN7rocprim17ROCPRIM_400000_NS6detail17trampoline_kernelINS0_14default_configENS1_22reduce_config_selectorIN6thrust23THRUST_200600_302600_NS5tupleIbffNS6_9null_typeES8_S8_S8_S8_S8_S8_EEEEZNS1_11reduce_implILb1ES3_PS9_SC_S9_12reduce_tupleIifEEE10hipError_tPvRmT1_T2_T3_mT4_P12ihipStream_tbEUlT_E0_NS1_11comp_targetILNS1_3genE10ELNS1_11target_archE1201ELNS1_3gpuE5ELNS1_3repE0EEENS1_30default_config_static_selectorELNS0_4arch9wavefront6targetE0EEEvSI_.uses_vcc, 0
	.set _ZN7rocprim17ROCPRIM_400000_NS6detail17trampoline_kernelINS0_14default_configENS1_22reduce_config_selectorIN6thrust23THRUST_200600_302600_NS5tupleIbffNS6_9null_typeES8_S8_S8_S8_S8_S8_EEEEZNS1_11reduce_implILb1ES3_PS9_SC_S9_12reduce_tupleIifEEE10hipError_tPvRmT1_T2_T3_mT4_P12ihipStream_tbEUlT_E0_NS1_11comp_targetILNS1_3genE10ELNS1_11target_archE1201ELNS1_3gpuE5ELNS1_3repE0EEENS1_30default_config_static_selectorELNS0_4arch9wavefront6targetE0EEEvSI_.uses_flat_scratch, 0
	.set _ZN7rocprim17ROCPRIM_400000_NS6detail17trampoline_kernelINS0_14default_configENS1_22reduce_config_selectorIN6thrust23THRUST_200600_302600_NS5tupleIbffNS6_9null_typeES8_S8_S8_S8_S8_S8_EEEEZNS1_11reduce_implILb1ES3_PS9_SC_S9_12reduce_tupleIifEEE10hipError_tPvRmT1_T2_T3_mT4_P12ihipStream_tbEUlT_E0_NS1_11comp_targetILNS1_3genE10ELNS1_11target_archE1201ELNS1_3gpuE5ELNS1_3repE0EEENS1_30default_config_static_selectorELNS0_4arch9wavefront6targetE0EEEvSI_.has_dyn_sized_stack, 0
	.set _ZN7rocprim17ROCPRIM_400000_NS6detail17trampoline_kernelINS0_14default_configENS1_22reduce_config_selectorIN6thrust23THRUST_200600_302600_NS5tupleIbffNS6_9null_typeES8_S8_S8_S8_S8_S8_EEEEZNS1_11reduce_implILb1ES3_PS9_SC_S9_12reduce_tupleIifEEE10hipError_tPvRmT1_T2_T3_mT4_P12ihipStream_tbEUlT_E0_NS1_11comp_targetILNS1_3genE10ELNS1_11target_archE1201ELNS1_3gpuE5ELNS1_3repE0EEENS1_30default_config_static_selectorELNS0_4arch9wavefront6targetE0EEEvSI_.has_recursion, 0
	.set _ZN7rocprim17ROCPRIM_400000_NS6detail17trampoline_kernelINS0_14default_configENS1_22reduce_config_selectorIN6thrust23THRUST_200600_302600_NS5tupleIbffNS6_9null_typeES8_S8_S8_S8_S8_S8_EEEEZNS1_11reduce_implILb1ES3_PS9_SC_S9_12reduce_tupleIifEEE10hipError_tPvRmT1_T2_T3_mT4_P12ihipStream_tbEUlT_E0_NS1_11comp_targetILNS1_3genE10ELNS1_11target_archE1201ELNS1_3gpuE5ELNS1_3repE0EEENS1_30default_config_static_selectorELNS0_4arch9wavefront6targetE0EEEvSI_.has_indirect_call, 0
	.section	.AMDGPU.csdata,"",@progbits
; Kernel info:
; codeLenInByte = 0
; TotalNumSgprs: 0
; NumVgprs: 0
; ScratchSize: 0
; MemoryBound: 0
; FloatMode: 240
; IeeeMode: 1
; LDSByteSize: 0 bytes/workgroup (compile time only)
; SGPRBlocks: 0
; VGPRBlocks: 0
; NumSGPRsForWavesPerEU: 1
; NumVGPRsForWavesPerEU: 1
; Occupancy: 16
; WaveLimiterHint : 0
; COMPUTE_PGM_RSRC2:SCRATCH_EN: 0
; COMPUTE_PGM_RSRC2:USER_SGPR: 6
; COMPUTE_PGM_RSRC2:TRAP_HANDLER: 0
; COMPUTE_PGM_RSRC2:TGID_X_EN: 1
; COMPUTE_PGM_RSRC2:TGID_Y_EN: 0
; COMPUTE_PGM_RSRC2:TGID_Z_EN: 0
; COMPUTE_PGM_RSRC2:TIDIG_COMP_CNT: 0
	.section	.text._ZN7rocprim17ROCPRIM_400000_NS6detail17trampoline_kernelINS0_14default_configENS1_22reduce_config_selectorIN6thrust23THRUST_200600_302600_NS5tupleIbffNS6_9null_typeES8_S8_S8_S8_S8_S8_EEEEZNS1_11reduce_implILb1ES3_PS9_SC_S9_12reduce_tupleIifEEE10hipError_tPvRmT1_T2_T3_mT4_P12ihipStream_tbEUlT_E0_NS1_11comp_targetILNS1_3genE10ELNS1_11target_archE1200ELNS1_3gpuE4ELNS1_3repE0EEENS1_30default_config_static_selectorELNS0_4arch9wavefront6targetE0EEEvSI_,"axG",@progbits,_ZN7rocprim17ROCPRIM_400000_NS6detail17trampoline_kernelINS0_14default_configENS1_22reduce_config_selectorIN6thrust23THRUST_200600_302600_NS5tupleIbffNS6_9null_typeES8_S8_S8_S8_S8_S8_EEEEZNS1_11reduce_implILb1ES3_PS9_SC_S9_12reduce_tupleIifEEE10hipError_tPvRmT1_T2_T3_mT4_P12ihipStream_tbEUlT_E0_NS1_11comp_targetILNS1_3genE10ELNS1_11target_archE1200ELNS1_3gpuE4ELNS1_3repE0EEENS1_30default_config_static_selectorELNS0_4arch9wavefront6targetE0EEEvSI_,comdat
	.protected	_ZN7rocprim17ROCPRIM_400000_NS6detail17trampoline_kernelINS0_14default_configENS1_22reduce_config_selectorIN6thrust23THRUST_200600_302600_NS5tupleIbffNS6_9null_typeES8_S8_S8_S8_S8_S8_EEEEZNS1_11reduce_implILb1ES3_PS9_SC_S9_12reduce_tupleIifEEE10hipError_tPvRmT1_T2_T3_mT4_P12ihipStream_tbEUlT_E0_NS1_11comp_targetILNS1_3genE10ELNS1_11target_archE1200ELNS1_3gpuE4ELNS1_3repE0EEENS1_30default_config_static_selectorELNS0_4arch9wavefront6targetE0EEEvSI_ ; -- Begin function _ZN7rocprim17ROCPRIM_400000_NS6detail17trampoline_kernelINS0_14default_configENS1_22reduce_config_selectorIN6thrust23THRUST_200600_302600_NS5tupleIbffNS6_9null_typeES8_S8_S8_S8_S8_S8_EEEEZNS1_11reduce_implILb1ES3_PS9_SC_S9_12reduce_tupleIifEEE10hipError_tPvRmT1_T2_T3_mT4_P12ihipStream_tbEUlT_E0_NS1_11comp_targetILNS1_3genE10ELNS1_11target_archE1200ELNS1_3gpuE4ELNS1_3repE0EEENS1_30default_config_static_selectorELNS0_4arch9wavefront6targetE0EEEvSI_
	.globl	_ZN7rocprim17ROCPRIM_400000_NS6detail17trampoline_kernelINS0_14default_configENS1_22reduce_config_selectorIN6thrust23THRUST_200600_302600_NS5tupleIbffNS6_9null_typeES8_S8_S8_S8_S8_S8_EEEEZNS1_11reduce_implILb1ES3_PS9_SC_S9_12reduce_tupleIifEEE10hipError_tPvRmT1_T2_T3_mT4_P12ihipStream_tbEUlT_E0_NS1_11comp_targetILNS1_3genE10ELNS1_11target_archE1200ELNS1_3gpuE4ELNS1_3repE0EEENS1_30default_config_static_selectorELNS0_4arch9wavefront6targetE0EEEvSI_
	.p2align	8
	.type	_ZN7rocprim17ROCPRIM_400000_NS6detail17trampoline_kernelINS0_14default_configENS1_22reduce_config_selectorIN6thrust23THRUST_200600_302600_NS5tupleIbffNS6_9null_typeES8_S8_S8_S8_S8_S8_EEEEZNS1_11reduce_implILb1ES3_PS9_SC_S9_12reduce_tupleIifEEE10hipError_tPvRmT1_T2_T3_mT4_P12ihipStream_tbEUlT_E0_NS1_11comp_targetILNS1_3genE10ELNS1_11target_archE1200ELNS1_3gpuE4ELNS1_3repE0EEENS1_30default_config_static_selectorELNS0_4arch9wavefront6targetE0EEEvSI_,@function
_ZN7rocprim17ROCPRIM_400000_NS6detail17trampoline_kernelINS0_14default_configENS1_22reduce_config_selectorIN6thrust23THRUST_200600_302600_NS5tupleIbffNS6_9null_typeES8_S8_S8_S8_S8_S8_EEEEZNS1_11reduce_implILb1ES3_PS9_SC_S9_12reduce_tupleIifEEE10hipError_tPvRmT1_T2_T3_mT4_P12ihipStream_tbEUlT_E0_NS1_11comp_targetILNS1_3genE10ELNS1_11target_archE1200ELNS1_3gpuE4ELNS1_3repE0EEENS1_30default_config_static_selectorELNS0_4arch9wavefront6targetE0EEEvSI_: ; @_ZN7rocprim17ROCPRIM_400000_NS6detail17trampoline_kernelINS0_14default_configENS1_22reduce_config_selectorIN6thrust23THRUST_200600_302600_NS5tupleIbffNS6_9null_typeES8_S8_S8_S8_S8_S8_EEEEZNS1_11reduce_implILb1ES3_PS9_SC_S9_12reduce_tupleIifEEE10hipError_tPvRmT1_T2_T3_mT4_P12ihipStream_tbEUlT_E0_NS1_11comp_targetILNS1_3genE10ELNS1_11target_archE1200ELNS1_3gpuE4ELNS1_3repE0EEENS1_30default_config_static_selectorELNS0_4arch9wavefront6targetE0EEEvSI_
; %bb.0:
	.section	.rodata,"a",@progbits
	.p2align	6, 0x0
	.amdhsa_kernel _ZN7rocprim17ROCPRIM_400000_NS6detail17trampoline_kernelINS0_14default_configENS1_22reduce_config_selectorIN6thrust23THRUST_200600_302600_NS5tupleIbffNS6_9null_typeES8_S8_S8_S8_S8_S8_EEEEZNS1_11reduce_implILb1ES3_PS9_SC_S9_12reduce_tupleIifEEE10hipError_tPvRmT1_T2_T3_mT4_P12ihipStream_tbEUlT_E0_NS1_11comp_targetILNS1_3genE10ELNS1_11target_archE1200ELNS1_3gpuE4ELNS1_3repE0EEENS1_30default_config_static_selectorELNS0_4arch9wavefront6targetE0EEEvSI_
		.amdhsa_group_segment_fixed_size 0
		.amdhsa_private_segment_fixed_size 0
		.amdhsa_kernarg_size 64
		.amdhsa_user_sgpr_count 6
		.amdhsa_user_sgpr_private_segment_buffer 1
		.amdhsa_user_sgpr_dispatch_ptr 0
		.amdhsa_user_sgpr_queue_ptr 0
		.amdhsa_user_sgpr_kernarg_segment_ptr 1
		.amdhsa_user_sgpr_dispatch_id 0
		.amdhsa_user_sgpr_flat_scratch_init 0
		.amdhsa_user_sgpr_private_segment_size 0
		.amdhsa_wavefront_size32 1
		.amdhsa_uses_dynamic_stack 0
		.amdhsa_system_sgpr_private_segment_wavefront_offset 0
		.amdhsa_system_sgpr_workgroup_id_x 1
		.amdhsa_system_sgpr_workgroup_id_y 0
		.amdhsa_system_sgpr_workgroup_id_z 0
		.amdhsa_system_sgpr_workgroup_info 0
		.amdhsa_system_vgpr_workitem_id 0
		.amdhsa_next_free_vgpr 1
		.amdhsa_next_free_sgpr 1
		.amdhsa_reserve_vcc 0
		.amdhsa_reserve_flat_scratch 0
		.amdhsa_float_round_mode_32 0
		.amdhsa_float_round_mode_16_64 0
		.amdhsa_float_denorm_mode_32 3
		.amdhsa_float_denorm_mode_16_64 3
		.amdhsa_dx10_clamp 1
		.amdhsa_ieee_mode 1
		.amdhsa_fp16_overflow 0
		.amdhsa_workgroup_processor_mode 1
		.amdhsa_memory_ordered 1
		.amdhsa_forward_progress 1
		.amdhsa_shared_vgpr_count 0
		.amdhsa_exception_fp_ieee_invalid_op 0
		.amdhsa_exception_fp_denorm_src 0
		.amdhsa_exception_fp_ieee_div_zero 0
		.amdhsa_exception_fp_ieee_overflow 0
		.amdhsa_exception_fp_ieee_underflow 0
		.amdhsa_exception_fp_ieee_inexact 0
		.amdhsa_exception_int_div_zero 0
	.end_amdhsa_kernel
	.section	.text._ZN7rocprim17ROCPRIM_400000_NS6detail17trampoline_kernelINS0_14default_configENS1_22reduce_config_selectorIN6thrust23THRUST_200600_302600_NS5tupleIbffNS6_9null_typeES8_S8_S8_S8_S8_S8_EEEEZNS1_11reduce_implILb1ES3_PS9_SC_S9_12reduce_tupleIifEEE10hipError_tPvRmT1_T2_T3_mT4_P12ihipStream_tbEUlT_E0_NS1_11comp_targetILNS1_3genE10ELNS1_11target_archE1200ELNS1_3gpuE4ELNS1_3repE0EEENS1_30default_config_static_selectorELNS0_4arch9wavefront6targetE0EEEvSI_,"axG",@progbits,_ZN7rocprim17ROCPRIM_400000_NS6detail17trampoline_kernelINS0_14default_configENS1_22reduce_config_selectorIN6thrust23THRUST_200600_302600_NS5tupleIbffNS6_9null_typeES8_S8_S8_S8_S8_S8_EEEEZNS1_11reduce_implILb1ES3_PS9_SC_S9_12reduce_tupleIifEEE10hipError_tPvRmT1_T2_T3_mT4_P12ihipStream_tbEUlT_E0_NS1_11comp_targetILNS1_3genE10ELNS1_11target_archE1200ELNS1_3gpuE4ELNS1_3repE0EEENS1_30default_config_static_selectorELNS0_4arch9wavefront6targetE0EEEvSI_,comdat
.Lfunc_end7:
	.size	_ZN7rocprim17ROCPRIM_400000_NS6detail17trampoline_kernelINS0_14default_configENS1_22reduce_config_selectorIN6thrust23THRUST_200600_302600_NS5tupleIbffNS6_9null_typeES8_S8_S8_S8_S8_S8_EEEEZNS1_11reduce_implILb1ES3_PS9_SC_S9_12reduce_tupleIifEEE10hipError_tPvRmT1_T2_T3_mT4_P12ihipStream_tbEUlT_E0_NS1_11comp_targetILNS1_3genE10ELNS1_11target_archE1200ELNS1_3gpuE4ELNS1_3repE0EEENS1_30default_config_static_selectorELNS0_4arch9wavefront6targetE0EEEvSI_, .Lfunc_end7-_ZN7rocprim17ROCPRIM_400000_NS6detail17trampoline_kernelINS0_14default_configENS1_22reduce_config_selectorIN6thrust23THRUST_200600_302600_NS5tupleIbffNS6_9null_typeES8_S8_S8_S8_S8_S8_EEEEZNS1_11reduce_implILb1ES3_PS9_SC_S9_12reduce_tupleIifEEE10hipError_tPvRmT1_T2_T3_mT4_P12ihipStream_tbEUlT_E0_NS1_11comp_targetILNS1_3genE10ELNS1_11target_archE1200ELNS1_3gpuE4ELNS1_3repE0EEENS1_30default_config_static_selectorELNS0_4arch9wavefront6targetE0EEEvSI_
                                        ; -- End function
	.set _ZN7rocprim17ROCPRIM_400000_NS6detail17trampoline_kernelINS0_14default_configENS1_22reduce_config_selectorIN6thrust23THRUST_200600_302600_NS5tupleIbffNS6_9null_typeES8_S8_S8_S8_S8_S8_EEEEZNS1_11reduce_implILb1ES3_PS9_SC_S9_12reduce_tupleIifEEE10hipError_tPvRmT1_T2_T3_mT4_P12ihipStream_tbEUlT_E0_NS1_11comp_targetILNS1_3genE10ELNS1_11target_archE1200ELNS1_3gpuE4ELNS1_3repE0EEENS1_30default_config_static_selectorELNS0_4arch9wavefront6targetE0EEEvSI_.num_vgpr, 0
	.set _ZN7rocprim17ROCPRIM_400000_NS6detail17trampoline_kernelINS0_14default_configENS1_22reduce_config_selectorIN6thrust23THRUST_200600_302600_NS5tupleIbffNS6_9null_typeES8_S8_S8_S8_S8_S8_EEEEZNS1_11reduce_implILb1ES3_PS9_SC_S9_12reduce_tupleIifEEE10hipError_tPvRmT1_T2_T3_mT4_P12ihipStream_tbEUlT_E0_NS1_11comp_targetILNS1_3genE10ELNS1_11target_archE1200ELNS1_3gpuE4ELNS1_3repE0EEENS1_30default_config_static_selectorELNS0_4arch9wavefront6targetE0EEEvSI_.num_agpr, 0
	.set _ZN7rocprim17ROCPRIM_400000_NS6detail17trampoline_kernelINS0_14default_configENS1_22reduce_config_selectorIN6thrust23THRUST_200600_302600_NS5tupleIbffNS6_9null_typeES8_S8_S8_S8_S8_S8_EEEEZNS1_11reduce_implILb1ES3_PS9_SC_S9_12reduce_tupleIifEEE10hipError_tPvRmT1_T2_T3_mT4_P12ihipStream_tbEUlT_E0_NS1_11comp_targetILNS1_3genE10ELNS1_11target_archE1200ELNS1_3gpuE4ELNS1_3repE0EEENS1_30default_config_static_selectorELNS0_4arch9wavefront6targetE0EEEvSI_.numbered_sgpr, 0
	.set _ZN7rocprim17ROCPRIM_400000_NS6detail17trampoline_kernelINS0_14default_configENS1_22reduce_config_selectorIN6thrust23THRUST_200600_302600_NS5tupleIbffNS6_9null_typeES8_S8_S8_S8_S8_S8_EEEEZNS1_11reduce_implILb1ES3_PS9_SC_S9_12reduce_tupleIifEEE10hipError_tPvRmT1_T2_T3_mT4_P12ihipStream_tbEUlT_E0_NS1_11comp_targetILNS1_3genE10ELNS1_11target_archE1200ELNS1_3gpuE4ELNS1_3repE0EEENS1_30default_config_static_selectorELNS0_4arch9wavefront6targetE0EEEvSI_.num_named_barrier, 0
	.set _ZN7rocprim17ROCPRIM_400000_NS6detail17trampoline_kernelINS0_14default_configENS1_22reduce_config_selectorIN6thrust23THRUST_200600_302600_NS5tupleIbffNS6_9null_typeES8_S8_S8_S8_S8_S8_EEEEZNS1_11reduce_implILb1ES3_PS9_SC_S9_12reduce_tupleIifEEE10hipError_tPvRmT1_T2_T3_mT4_P12ihipStream_tbEUlT_E0_NS1_11comp_targetILNS1_3genE10ELNS1_11target_archE1200ELNS1_3gpuE4ELNS1_3repE0EEENS1_30default_config_static_selectorELNS0_4arch9wavefront6targetE0EEEvSI_.private_seg_size, 0
	.set _ZN7rocprim17ROCPRIM_400000_NS6detail17trampoline_kernelINS0_14default_configENS1_22reduce_config_selectorIN6thrust23THRUST_200600_302600_NS5tupleIbffNS6_9null_typeES8_S8_S8_S8_S8_S8_EEEEZNS1_11reduce_implILb1ES3_PS9_SC_S9_12reduce_tupleIifEEE10hipError_tPvRmT1_T2_T3_mT4_P12ihipStream_tbEUlT_E0_NS1_11comp_targetILNS1_3genE10ELNS1_11target_archE1200ELNS1_3gpuE4ELNS1_3repE0EEENS1_30default_config_static_selectorELNS0_4arch9wavefront6targetE0EEEvSI_.uses_vcc, 0
	.set _ZN7rocprim17ROCPRIM_400000_NS6detail17trampoline_kernelINS0_14default_configENS1_22reduce_config_selectorIN6thrust23THRUST_200600_302600_NS5tupleIbffNS6_9null_typeES8_S8_S8_S8_S8_S8_EEEEZNS1_11reduce_implILb1ES3_PS9_SC_S9_12reduce_tupleIifEEE10hipError_tPvRmT1_T2_T3_mT4_P12ihipStream_tbEUlT_E0_NS1_11comp_targetILNS1_3genE10ELNS1_11target_archE1200ELNS1_3gpuE4ELNS1_3repE0EEENS1_30default_config_static_selectorELNS0_4arch9wavefront6targetE0EEEvSI_.uses_flat_scratch, 0
	.set _ZN7rocprim17ROCPRIM_400000_NS6detail17trampoline_kernelINS0_14default_configENS1_22reduce_config_selectorIN6thrust23THRUST_200600_302600_NS5tupleIbffNS6_9null_typeES8_S8_S8_S8_S8_S8_EEEEZNS1_11reduce_implILb1ES3_PS9_SC_S9_12reduce_tupleIifEEE10hipError_tPvRmT1_T2_T3_mT4_P12ihipStream_tbEUlT_E0_NS1_11comp_targetILNS1_3genE10ELNS1_11target_archE1200ELNS1_3gpuE4ELNS1_3repE0EEENS1_30default_config_static_selectorELNS0_4arch9wavefront6targetE0EEEvSI_.has_dyn_sized_stack, 0
	.set _ZN7rocprim17ROCPRIM_400000_NS6detail17trampoline_kernelINS0_14default_configENS1_22reduce_config_selectorIN6thrust23THRUST_200600_302600_NS5tupleIbffNS6_9null_typeES8_S8_S8_S8_S8_S8_EEEEZNS1_11reduce_implILb1ES3_PS9_SC_S9_12reduce_tupleIifEEE10hipError_tPvRmT1_T2_T3_mT4_P12ihipStream_tbEUlT_E0_NS1_11comp_targetILNS1_3genE10ELNS1_11target_archE1200ELNS1_3gpuE4ELNS1_3repE0EEENS1_30default_config_static_selectorELNS0_4arch9wavefront6targetE0EEEvSI_.has_recursion, 0
	.set _ZN7rocprim17ROCPRIM_400000_NS6detail17trampoline_kernelINS0_14default_configENS1_22reduce_config_selectorIN6thrust23THRUST_200600_302600_NS5tupleIbffNS6_9null_typeES8_S8_S8_S8_S8_S8_EEEEZNS1_11reduce_implILb1ES3_PS9_SC_S9_12reduce_tupleIifEEE10hipError_tPvRmT1_T2_T3_mT4_P12ihipStream_tbEUlT_E0_NS1_11comp_targetILNS1_3genE10ELNS1_11target_archE1200ELNS1_3gpuE4ELNS1_3repE0EEENS1_30default_config_static_selectorELNS0_4arch9wavefront6targetE0EEEvSI_.has_indirect_call, 0
	.section	.AMDGPU.csdata,"",@progbits
; Kernel info:
; codeLenInByte = 0
; TotalNumSgprs: 0
; NumVgprs: 0
; ScratchSize: 0
; MemoryBound: 0
; FloatMode: 240
; IeeeMode: 1
; LDSByteSize: 0 bytes/workgroup (compile time only)
; SGPRBlocks: 0
; VGPRBlocks: 0
; NumSGPRsForWavesPerEU: 1
; NumVGPRsForWavesPerEU: 1
; Occupancy: 16
; WaveLimiterHint : 0
; COMPUTE_PGM_RSRC2:SCRATCH_EN: 0
; COMPUTE_PGM_RSRC2:USER_SGPR: 6
; COMPUTE_PGM_RSRC2:TRAP_HANDLER: 0
; COMPUTE_PGM_RSRC2:TGID_X_EN: 1
; COMPUTE_PGM_RSRC2:TGID_Y_EN: 0
; COMPUTE_PGM_RSRC2:TGID_Z_EN: 0
; COMPUTE_PGM_RSRC2:TIDIG_COMP_CNT: 0
	.section	.text._ZN7rocprim17ROCPRIM_400000_NS6detail17trampoline_kernelINS0_14default_configENS1_22reduce_config_selectorIN6thrust23THRUST_200600_302600_NS5tupleIbffNS6_9null_typeES8_S8_S8_S8_S8_S8_EEEEZNS1_11reduce_implILb1ES3_PS9_SC_S9_12reduce_tupleIifEEE10hipError_tPvRmT1_T2_T3_mT4_P12ihipStream_tbEUlT_E0_NS1_11comp_targetILNS1_3genE9ELNS1_11target_archE1100ELNS1_3gpuE3ELNS1_3repE0EEENS1_30default_config_static_selectorELNS0_4arch9wavefront6targetE0EEEvSI_,"axG",@progbits,_ZN7rocprim17ROCPRIM_400000_NS6detail17trampoline_kernelINS0_14default_configENS1_22reduce_config_selectorIN6thrust23THRUST_200600_302600_NS5tupleIbffNS6_9null_typeES8_S8_S8_S8_S8_S8_EEEEZNS1_11reduce_implILb1ES3_PS9_SC_S9_12reduce_tupleIifEEE10hipError_tPvRmT1_T2_T3_mT4_P12ihipStream_tbEUlT_E0_NS1_11comp_targetILNS1_3genE9ELNS1_11target_archE1100ELNS1_3gpuE3ELNS1_3repE0EEENS1_30default_config_static_selectorELNS0_4arch9wavefront6targetE0EEEvSI_,comdat
	.protected	_ZN7rocprim17ROCPRIM_400000_NS6detail17trampoline_kernelINS0_14default_configENS1_22reduce_config_selectorIN6thrust23THRUST_200600_302600_NS5tupleIbffNS6_9null_typeES8_S8_S8_S8_S8_S8_EEEEZNS1_11reduce_implILb1ES3_PS9_SC_S9_12reduce_tupleIifEEE10hipError_tPvRmT1_T2_T3_mT4_P12ihipStream_tbEUlT_E0_NS1_11comp_targetILNS1_3genE9ELNS1_11target_archE1100ELNS1_3gpuE3ELNS1_3repE0EEENS1_30default_config_static_selectorELNS0_4arch9wavefront6targetE0EEEvSI_ ; -- Begin function _ZN7rocprim17ROCPRIM_400000_NS6detail17trampoline_kernelINS0_14default_configENS1_22reduce_config_selectorIN6thrust23THRUST_200600_302600_NS5tupleIbffNS6_9null_typeES8_S8_S8_S8_S8_S8_EEEEZNS1_11reduce_implILb1ES3_PS9_SC_S9_12reduce_tupleIifEEE10hipError_tPvRmT1_T2_T3_mT4_P12ihipStream_tbEUlT_E0_NS1_11comp_targetILNS1_3genE9ELNS1_11target_archE1100ELNS1_3gpuE3ELNS1_3repE0EEENS1_30default_config_static_selectorELNS0_4arch9wavefront6targetE0EEEvSI_
	.globl	_ZN7rocprim17ROCPRIM_400000_NS6detail17trampoline_kernelINS0_14default_configENS1_22reduce_config_selectorIN6thrust23THRUST_200600_302600_NS5tupleIbffNS6_9null_typeES8_S8_S8_S8_S8_S8_EEEEZNS1_11reduce_implILb1ES3_PS9_SC_S9_12reduce_tupleIifEEE10hipError_tPvRmT1_T2_T3_mT4_P12ihipStream_tbEUlT_E0_NS1_11comp_targetILNS1_3genE9ELNS1_11target_archE1100ELNS1_3gpuE3ELNS1_3repE0EEENS1_30default_config_static_selectorELNS0_4arch9wavefront6targetE0EEEvSI_
	.p2align	8
	.type	_ZN7rocprim17ROCPRIM_400000_NS6detail17trampoline_kernelINS0_14default_configENS1_22reduce_config_selectorIN6thrust23THRUST_200600_302600_NS5tupleIbffNS6_9null_typeES8_S8_S8_S8_S8_S8_EEEEZNS1_11reduce_implILb1ES3_PS9_SC_S9_12reduce_tupleIifEEE10hipError_tPvRmT1_T2_T3_mT4_P12ihipStream_tbEUlT_E0_NS1_11comp_targetILNS1_3genE9ELNS1_11target_archE1100ELNS1_3gpuE3ELNS1_3repE0EEENS1_30default_config_static_selectorELNS0_4arch9wavefront6targetE0EEEvSI_,@function
_ZN7rocprim17ROCPRIM_400000_NS6detail17trampoline_kernelINS0_14default_configENS1_22reduce_config_selectorIN6thrust23THRUST_200600_302600_NS5tupleIbffNS6_9null_typeES8_S8_S8_S8_S8_S8_EEEEZNS1_11reduce_implILb1ES3_PS9_SC_S9_12reduce_tupleIifEEE10hipError_tPvRmT1_T2_T3_mT4_P12ihipStream_tbEUlT_E0_NS1_11comp_targetILNS1_3genE9ELNS1_11target_archE1100ELNS1_3gpuE3ELNS1_3repE0EEENS1_30default_config_static_selectorELNS0_4arch9wavefront6targetE0EEEvSI_: ; @_ZN7rocprim17ROCPRIM_400000_NS6detail17trampoline_kernelINS0_14default_configENS1_22reduce_config_selectorIN6thrust23THRUST_200600_302600_NS5tupleIbffNS6_9null_typeES8_S8_S8_S8_S8_S8_EEEEZNS1_11reduce_implILb1ES3_PS9_SC_S9_12reduce_tupleIifEEE10hipError_tPvRmT1_T2_T3_mT4_P12ihipStream_tbEUlT_E0_NS1_11comp_targetILNS1_3genE9ELNS1_11target_archE1100ELNS1_3gpuE3ELNS1_3repE0EEENS1_30default_config_static_selectorELNS0_4arch9wavefront6targetE0EEEvSI_
; %bb.0:
	.section	.rodata,"a",@progbits
	.p2align	6, 0x0
	.amdhsa_kernel _ZN7rocprim17ROCPRIM_400000_NS6detail17trampoline_kernelINS0_14default_configENS1_22reduce_config_selectorIN6thrust23THRUST_200600_302600_NS5tupleIbffNS6_9null_typeES8_S8_S8_S8_S8_S8_EEEEZNS1_11reduce_implILb1ES3_PS9_SC_S9_12reduce_tupleIifEEE10hipError_tPvRmT1_T2_T3_mT4_P12ihipStream_tbEUlT_E0_NS1_11comp_targetILNS1_3genE9ELNS1_11target_archE1100ELNS1_3gpuE3ELNS1_3repE0EEENS1_30default_config_static_selectorELNS0_4arch9wavefront6targetE0EEEvSI_
		.amdhsa_group_segment_fixed_size 0
		.amdhsa_private_segment_fixed_size 0
		.amdhsa_kernarg_size 64
		.amdhsa_user_sgpr_count 6
		.amdhsa_user_sgpr_private_segment_buffer 1
		.amdhsa_user_sgpr_dispatch_ptr 0
		.amdhsa_user_sgpr_queue_ptr 0
		.amdhsa_user_sgpr_kernarg_segment_ptr 1
		.amdhsa_user_sgpr_dispatch_id 0
		.amdhsa_user_sgpr_flat_scratch_init 0
		.amdhsa_user_sgpr_private_segment_size 0
		.amdhsa_wavefront_size32 1
		.amdhsa_uses_dynamic_stack 0
		.amdhsa_system_sgpr_private_segment_wavefront_offset 0
		.amdhsa_system_sgpr_workgroup_id_x 1
		.amdhsa_system_sgpr_workgroup_id_y 0
		.amdhsa_system_sgpr_workgroup_id_z 0
		.amdhsa_system_sgpr_workgroup_info 0
		.amdhsa_system_vgpr_workitem_id 0
		.amdhsa_next_free_vgpr 1
		.amdhsa_next_free_sgpr 1
		.amdhsa_reserve_vcc 0
		.amdhsa_reserve_flat_scratch 0
		.amdhsa_float_round_mode_32 0
		.amdhsa_float_round_mode_16_64 0
		.amdhsa_float_denorm_mode_32 3
		.amdhsa_float_denorm_mode_16_64 3
		.amdhsa_dx10_clamp 1
		.amdhsa_ieee_mode 1
		.amdhsa_fp16_overflow 0
		.amdhsa_workgroup_processor_mode 1
		.amdhsa_memory_ordered 1
		.amdhsa_forward_progress 1
		.amdhsa_shared_vgpr_count 0
		.amdhsa_exception_fp_ieee_invalid_op 0
		.amdhsa_exception_fp_denorm_src 0
		.amdhsa_exception_fp_ieee_div_zero 0
		.amdhsa_exception_fp_ieee_overflow 0
		.amdhsa_exception_fp_ieee_underflow 0
		.amdhsa_exception_fp_ieee_inexact 0
		.amdhsa_exception_int_div_zero 0
	.end_amdhsa_kernel
	.section	.text._ZN7rocprim17ROCPRIM_400000_NS6detail17trampoline_kernelINS0_14default_configENS1_22reduce_config_selectorIN6thrust23THRUST_200600_302600_NS5tupleIbffNS6_9null_typeES8_S8_S8_S8_S8_S8_EEEEZNS1_11reduce_implILb1ES3_PS9_SC_S9_12reduce_tupleIifEEE10hipError_tPvRmT1_T2_T3_mT4_P12ihipStream_tbEUlT_E0_NS1_11comp_targetILNS1_3genE9ELNS1_11target_archE1100ELNS1_3gpuE3ELNS1_3repE0EEENS1_30default_config_static_selectorELNS0_4arch9wavefront6targetE0EEEvSI_,"axG",@progbits,_ZN7rocprim17ROCPRIM_400000_NS6detail17trampoline_kernelINS0_14default_configENS1_22reduce_config_selectorIN6thrust23THRUST_200600_302600_NS5tupleIbffNS6_9null_typeES8_S8_S8_S8_S8_S8_EEEEZNS1_11reduce_implILb1ES3_PS9_SC_S9_12reduce_tupleIifEEE10hipError_tPvRmT1_T2_T3_mT4_P12ihipStream_tbEUlT_E0_NS1_11comp_targetILNS1_3genE9ELNS1_11target_archE1100ELNS1_3gpuE3ELNS1_3repE0EEENS1_30default_config_static_selectorELNS0_4arch9wavefront6targetE0EEEvSI_,comdat
.Lfunc_end8:
	.size	_ZN7rocprim17ROCPRIM_400000_NS6detail17trampoline_kernelINS0_14default_configENS1_22reduce_config_selectorIN6thrust23THRUST_200600_302600_NS5tupleIbffNS6_9null_typeES8_S8_S8_S8_S8_S8_EEEEZNS1_11reduce_implILb1ES3_PS9_SC_S9_12reduce_tupleIifEEE10hipError_tPvRmT1_T2_T3_mT4_P12ihipStream_tbEUlT_E0_NS1_11comp_targetILNS1_3genE9ELNS1_11target_archE1100ELNS1_3gpuE3ELNS1_3repE0EEENS1_30default_config_static_selectorELNS0_4arch9wavefront6targetE0EEEvSI_, .Lfunc_end8-_ZN7rocprim17ROCPRIM_400000_NS6detail17trampoline_kernelINS0_14default_configENS1_22reduce_config_selectorIN6thrust23THRUST_200600_302600_NS5tupleIbffNS6_9null_typeES8_S8_S8_S8_S8_S8_EEEEZNS1_11reduce_implILb1ES3_PS9_SC_S9_12reduce_tupleIifEEE10hipError_tPvRmT1_T2_T3_mT4_P12ihipStream_tbEUlT_E0_NS1_11comp_targetILNS1_3genE9ELNS1_11target_archE1100ELNS1_3gpuE3ELNS1_3repE0EEENS1_30default_config_static_selectorELNS0_4arch9wavefront6targetE0EEEvSI_
                                        ; -- End function
	.set _ZN7rocprim17ROCPRIM_400000_NS6detail17trampoline_kernelINS0_14default_configENS1_22reduce_config_selectorIN6thrust23THRUST_200600_302600_NS5tupleIbffNS6_9null_typeES8_S8_S8_S8_S8_S8_EEEEZNS1_11reduce_implILb1ES3_PS9_SC_S9_12reduce_tupleIifEEE10hipError_tPvRmT1_T2_T3_mT4_P12ihipStream_tbEUlT_E0_NS1_11comp_targetILNS1_3genE9ELNS1_11target_archE1100ELNS1_3gpuE3ELNS1_3repE0EEENS1_30default_config_static_selectorELNS0_4arch9wavefront6targetE0EEEvSI_.num_vgpr, 0
	.set _ZN7rocprim17ROCPRIM_400000_NS6detail17trampoline_kernelINS0_14default_configENS1_22reduce_config_selectorIN6thrust23THRUST_200600_302600_NS5tupleIbffNS6_9null_typeES8_S8_S8_S8_S8_S8_EEEEZNS1_11reduce_implILb1ES3_PS9_SC_S9_12reduce_tupleIifEEE10hipError_tPvRmT1_T2_T3_mT4_P12ihipStream_tbEUlT_E0_NS1_11comp_targetILNS1_3genE9ELNS1_11target_archE1100ELNS1_3gpuE3ELNS1_3repE0EEENS1_30default_config_static_selectorELNS0_4arch9wavefront6targetE0EEEvSI_.num_agpr, 0
	.set _ZN7rocprim17ROCPRIM_400000_NS6detail17trampoline_kernelINS0_14default_configENS1_22reduce_config_selectorIN6thrust23THRUST_200600_302600_NS5tupleIbffNS6_9null_typeES8_S8_S8_S8_S8_S8_EEEEZNS1_11reduce_implILb1ES3_PS9_SC_S9_12reduce_tupleIifEEE10hipError_tPvRmT1_T2_T3_mT4_P12ihipStream_tbEUlT_E0_NS1_11comp_targetILNS1_3genE9ELNS1_11target_archE1100ELNS1_3gpuE3ELNS1_3repE0EEENS1_30default_config_static_selectorELNS0_4arch9wavefront6targetE0EEEvSI_.numbered_sgpr, 0
	.set _ZN7rocprim17ROCPRIM_400000_NS6detail17trampoline_kernelINS0_14default_configENS1_22reduce_config_selectorIN6thrust23THRUST_200600_302600_NS5tupleIbffNS6_9null_typeES8_S8_S8_S8_S8_S8_EEEEZNS1_11reduce_implILb1ES3_PS9_SC_S9_12reduce_tupleIifEEE10hipError_tPvRmT1_T2_T3_mT4_P12ihipStream_tbEUlT_E0_NS1_11comp_targetILNS1_3genE9ELNS1_11target_archE1100ELNS1_3gpuE3ELNS1_3repE0EEENS1_30default_config_static_selectorELNS0_4arch9wavefront6targetE0EEEvSI_.num_named_barrier, 0
	.set _ZN7rocprim17ROCPRIM_400000_NS6detail17trampoline_kernelINS0_14default_configENS1_22reduce_config_selectorIN6thrust23THRUST_200600_302600_NS5tupleIbffNS6_9null_typeES8_S8_S8_S8_S8_S8_EEEEZNS1_11reduce_implILb1ES3_PS9_SC_S9_12reduce_tupleIifEEE10hipError_tPvRmT1_T2_T3_mT4_P12ihipStream_tbEUlT_E0_NS1_11comp_targetILNS1_3genE9ELNS1_11target_archE1100ELNS1_3gpuE3ELNS1_3repE0EEENS1_30default_config_static_selectorELNS0_4arch9wavefront6targetE0EEEvSI_.private_seg_size, 0
	.set _ZN7rocprim17ROCPRIM_400000_NS6detail17trampoline_kernelINS0_14default_configENS1_22reduce_config_selectorIN6thrust23THRUST_200600_302600_NS5tupleIbffNS6_9null_typeES8_S8_S8_S8_S8_S8_EEEEZNS1_11reduce_implILb1ES3_PS9_SC_S9_12reduce_tupleIifEEE10hipError_tPvRmT1_T2_T3_mT4_P12ihipStream_tbEUlT_E0_NS1_11comp_targetILNS1_3genE9ELNS1_11target_archE1100ELNS1_3gpuE3ELNS1_3repE0EEENS1_30default_config_static_selectorELNS0_4arch9wavefront6targetE0EEEvSI_.uses_vcc, 0
	.set _ZN7rocprim17ROCPRIM_400000_NS6detail17trampoline_kernelINS0_14default_configENS1_22reduce_config_selectorIN6thrust23THRUST_200600_302600_NS5tupleIbffNS6_9null_typeES8_S8_S8_S8_S8_S8_EEEEZNS1_11reduce_implILb1ES3_PS9_SC_S9_12reduce_tupleIifEEE10hipError_tPvRmT1_T2_T3_mT4_P12ihipStream_tbEUlT_E0_NS1_11comp_targetILNS1_3genE9ELNS1_11target_archE1100ELNS1_3gpuE3ELNS1_3repE0EEENS1_30default_config_static_selectorELNS0_4arch9wavefront6targetE0EEEvSI_.uses_flat_scratch, 0
	.set _ZN7rocprim17ROCPRIM_400000_NS6detail17trampoline_kernelINS0_14default_configENS1_22reduce_config_selectorIN6thrust23THRUST_200600_302600_NS5tupleIbffNS6_9null_typeES8_S8_S8_S8_S8_S8_EEEEZNS1_11reduce_implILb1ES3_PS9_SC_S9_12reduce_tupleIifEEE10hipError_tPvRmT1_T2_T3_mT4_P12ihipStream_tbEUlT_E0_NS1_11comp_targetILNS1_3genE9ELNS1_11target_archE1100ELNS1_3gpuE3ELNS1_3repE0EEENS1_30default_config_static_selectorELNS0_4arch9wavefront6targetE0EEEvSI_.has_dyn_sized_stack, 0
	.set _ZN7rocprim17ROCPRIM_400000_NS6detail17trampoline_kernelINS0_14default_configENS1_22reduce_config_selectorIN6thrust23THRUST_200600_302600_NS5tupleIbffNS6_9null_typeES8_S8_S8_S8_S8_S8_EEEEZNS1_11reduce_implILb1ES3_PS9_SC_S9_12reduce_tupleIifEEE10hipError_tPvRmT1_T2_T3_mT4_P12ihipStream_tbEUlT_E0_NS1_11comp_targetILNS1_3genE9ELNS1_11target_archE1100ELNS1_3gpuE3ELNS1_3repE0EEENS1_30default_config_static_selectorELNS0_4arch9wavefront6targetE0EEEvSI_.has_recursion, 0
	.set _ZN7rocprim17ROCPRIM_400000_NS6detail17trampoline_kernelINS0_14default_configENS1_22reduce_config_selectorIN6thrust23THRUST_200600_302600_NS5tupleIbffNS6_9null_typeES8_S8_S8_S8_S8_S8_EEEEZNS1_11reduce_implILb1ES3_PS9_SC_S9_12reduce_tupleIifEEE10hipError_tPvRmT1_T2_T3_mT4_P12ihipStream_tbEUlT_E0_NS1_11comp_targetILNS1_3genE9ELNS1_11target_archE1100ELNS1_3gpuE3ELNS1_3repE0EEENS1_30default_config_static_selectorELNS0_4arch9wavefront6targetE0EEEvSI_.has_indirect_call, 0
	.section	.AMDGPU.csdata,"",@progbits
; Kernel info:
; codeLenInByte = 0
; TotalNumSgprs: 0
; NumVgprs: 0
; ScratchSize: 0
; MemoryBound: 0
; FloatMode: 240
; IeeeMode: 1
; LDSByteSize: 0 bytes/workgroup (compile time only)
; SGPRBlocks: 0
; VGPRBlocks: 0
; NumSGPRsForWavesPerEU: 1
; NumVGPRsForWavesPerEU: 1
; Occupancy: 16
; WaveLimiterHint : 0
; COMPUTE_PGM_RSRC2:SCRATCH_EN: 0
; COMPUTE_PGM_RSRC2:USER_SGPR: 6
; COMPUTE_PGM_RSRC2:TRAP_HANDLER: 0
; COMPUTE_PGM_RSRC2:TGID_X_EN: 1
; COMPUTE_PGM_RSRC2:TGID_Y_EN: 0
; COMPUTE_PGM_RSRC2:TGID_Z_EN: 0
; COMPUTE_PGM_RSRC2:TIDIG_COMP_CNT: 0
	.section	.text._ZN7rocprim17ROCPRIM_400000_NS6detail17trampoline_kernelINS0_14default_configENS1_22reduce_config_selectorIN6thrust23THRUST_200600_302600_NS5tupleIbffNS6_9null_typeES8_S8_S8_S8_S8_S8_EEEEZNS1_11reduce_implILb1ES3_PS9_SC_S9_12reduce_tupleIifEEE10hipError_tPvRmT1_T2_T3_mT4_P12ihipStream_tbEUlT_E0_NS1_11comp_targetILNS1_3genE8ELNS1_11target_archE1030ELNS1_3gpuE2ELNS1_3repE0EEENS1_30default_config_static_selectorELNS0_4arch9wavefront6targetE0EEEvSI_,"axG",@progbits,_ZN7rocprim17ROCPRIM_400000_NS6detail17trampoline_kernelINS0_14default_configENS1_22reduce_config_selectorIN6thrust23THRUST_200600_302600_NS5tupleIbffNS6_9null_typeES8_S8_S8_S8_S8_S8_EEEEZNS1_11reduce_implILb1ES3_PS9_SC_S9_12reduce_tupleIifEEE10hipError_tPvRmT1_T2_T3_mT4_P12ihipStream_tbEUlT_E0_NS1_11comp_targetILNS1_3genE8ELNS1_11target_archE1030ELNS1_3gpuE2ELNS1_3repE0EEENS1_30default_config_static_selectorELNS0_4arch9wavefront6targetE0EEEvSI_,comdat
	.protected	_ZN7rocprim17ROCPRIM_400000_NS6detail17trampoline_kernelINS0_14default_configENS1_22reduce_config_selectorIN6thrust23THRUST_200600_302600_NS5tupleIbffNS6_9null_typeES8_S8_S8_S8_S8_S8_EEEEZNS1_11reduce_implILb1ES3_PS9_SC_S9_12reduce_tupleIifEEE10hipError_tPvRmT1_T2_T3_mT4_P12ihipStream_tbEUlT_E0_NS1_11comp_targetILNS1_3genE8ELNS1_11target_archE1030ELNS1_3gpuE2ELNS1_3repE0EEENS1_30default_config_static_selectorELNS0_4arch9wavefront6targetE0EEEvSI_ ; -- Begin function _ZN7rocprim17ROCPRIM_400000_NS6detail17trampoline_kernelINS0_14default_configENS1_22reduce_config_selectorIN6thrust23THRUST_200600_302600_NS5tupleIbffNS6_9null_typeES8_S8_S8_S8_S8_S8_EEEEZNS1_11reduce_implILb1ES3_PS9_SC_S9_12reduce_tupleIifEEE10hipError_tPvRmT1_T2_T3_mT4_P12ihipStream_tbEUlT_E0_NS1_11comp_targetILNS1_3genE8ELNS1_11target_archE1030ELNS1_3gpuE2ELNS1_3repE0EEENS1_30default_config_static_selectorELNS0_4arch9wavefront6targetE0EEEvSI_
	.globl	_ZN7rocprim17ROCPRIM_400000_NS6detail17trampoline_kernelINS0_14default_configENS1_22reduce_config_selectorIN6thrust23THRUST_200600_302600_NS5tupleIbffNS6_9null_typeES8_S8_S8_S8_S8_S8_EEEEZNS1_11reduce_implILb1ES3_PS9_SC_S9_12reduce_tupleIifEEE10hipError_tPvRmT1_T2_T3_mT4_P12ihipStream_tbEUlT_E0_NS1_11comp_targetILNS1_3genE8ELNS1_11target_archE1030ELNS1_3gpuE2ELNS1_3repE0EEENS1_30default_config_static_selectorELNS0_4arch9wavefront6targetE0EEEvSI_
	.p2align	8
	.type	_ZN7rocprim17ROCPRIM_400000_NS6detail17trampoline_kernelINS0_14default_configENS1_22reduce_config_selectorIN6thrust23THRUST_200600_302600_NS5tupleIbffNS6_9null_typeES8_S8_S8_S8_S8_S8_EEEEZNS1_11reduce_implILb1ES3_PS9_SC_S9_12reduce_tupleIifEEE10hipError_tPvRmT1_T2_T3_mT4_P12ihipStream_tbEUlT_E0_NS1_11comp_targetILNS1_3genE8ELNS1_11target_archE1030ELNS1_3gpuE2ELNS1_3repE0EEENS1_30default_config_static_selectorELNS0_4arch9wavefront6targetE0EEEvSI_,@function
_ZN7rocprim17ROCPRIM_400000_NS6detail17trampoline_kernelINS0_14default_configENS1_22reduce_config_selectorIN6thrust23THRUST_200600_302600_NS5tupleIbffNS6_9null_typeES8_S8_S8_S8_S8_S8_EEEEZNS1_11reduce_implILb1ES3_PS9_SC_S9_12reduce_tupleIifEEE10hipError_tPvRmT1_T2_T3_mT4_P12ihipStream_tbEUlT_E0_NS1_11comp_targetILNS1_3genE8ELNS1_11target_archE1030ELNS1_3gpuE2ELNS1_3repE0EEENS1_30default_config_static_selectorELNS0_4arch9wavefront6targetE0EEEvSI_: ; @_ZN7rocprim17ROCPRIM_400000_NS6detail17trampoline_kernelINS0_14default_configENS1_22reduce_config_selectorIN6thrust23THRUST_200600_302600_NS5tupleIbffNS6_9null_typeES8_S8_S8_S8_S8_S8_EEEEZNS1_11reduce_implILb1ES3_PS9_SC_S9_12reduce_tupleIifEEE10hipError_tPvRmT1_T2_T3_mT4_P12ihipStream_tbEUlT_E0_NS1_11comp_targetILNS1_3genE8ELNS1_11target_archE1030ELNS1_3gpuE2ELNS1_3repE0EEENS1_30default_config_static_selectorELNS0_4arch9wavefront6targetE0EEEvSI_
; %bb.0:
	s_clause 0x1
	s_load_dwordx8 s[8:15], s[4:5], 0x0
	s_load_dwordx4 s[16:19], s[4:5], 0x20
	s_mov_b32 s7, 0
	s_waitcnt lgkmcnt(0)
	s_mul_i32 s0, s11, 12
	s_mul_hi_u32 s1, s10, 12
	s_mul_i32 s2, s10, 12
	s_add_i32 s1, s1, s0
	s_add_u32 s2, s8, s2
	s_addc_u32 s3, s9, s1
	s_lshl_b32 s8, s6, 9
	s_mul_i32 s9, s6, 0x1800
	s_lshr_b64 s[0:1], s[12:13], 9
	s_mul_hi_u32 s10, s8, 12
	s_add_u32 s2, s2, s9
	s_addc_u32 s3, s3, s10
	s_cmp_lg_u64 s[0:1], s[6:7]
	s_cbranch_scc0 .LBB9_60
; %bb.1:
	v_mad_u64_u32 v[1:2], null, v0, 12, s[2:3]
	s_mov_b32 s0, exec_lo
	v_add_co_u32 v3, vcc_lo, 0x800, v1
	v_add_co_ci_u32_e64 v4, null, 0, v2, vcc_lo
	s_clause 0x3
	global_load_ubyte v6, v[1:2], off
	global_load_ubyte v5, v[3:4], off offset:1024
	global_load_dwordx2 v[1:2], v[1:2], off offset:4
	global_load_dwordx2 v[3:4], v[3:4], off offset:1028
	s_waitcnt vmcnt(2)
	v_and_b32_e32 v7, v5, v6
	v_and_b32_e32 v7, 1, v7
	v_cmpx_eq_u32_e32 1, v7
	s_xor_b32 s0, exec_lo, s0
	s_cbranch_execz .LBB9_3
; %bb.2:
	s_waitcnt vmcnt(0)
	v_cmp_lt_f32_e32 vcc_lo, v3, v1
                                        ; implicit-def: $vgpr5
                                        ; implicit-def: $vgpr6
	v_cndmask_b32_e32 v1, v1, v3, vcc_lo
	v_cmp_lt_f32_e32 vcc_lo, v2, v4
	v_cndmask_b32_e32 v2, v2, v4, vcc_lo
                                        ; implicit-def: $vgpr4
.LBB9_3:
	s_or_saveexec_b32 s0, s0
	v_mov_b32_e32 v7, 1
	s_xor_b32 exec_lo, exec_lo, s0
	s_cbranch_execz .LBB9_7
; %bb.4:
	v_and_b32_e32 v6, 1, v6
	v_mov_b32_e32 v7, 1
	v_cmp_eq_u32_e32 vcc_lo, 1, v6
	s_xor_b32 s7, vcc_lo, -1
	s_and_saveexec_b32 s1, s7
	s_cbranch_execz .LBB9_6
; %bb.5:
	s_waitcnt vmcnt(0)
	v_mov_b32_e32 v2, v4
	v_mov_b32_e32 v1, v3
	;; [unrolled: 1-line block ×3, first 2 shown]
.LBB9_6:
	s_or_b32 exec_lo, exec_lo, s1
.LBB9_7:
	s_or_b32 exec_lo, exec_lo, s0
	v_and_b32_e32 v5, 0xff, v7
	s_waitcnt vmcnt(0)
	v_and_b32_e32 v4, 1, v7
                                        ; implicit-def: $vgpr6
	v_mov_b32_dpp v3, v5 quad_perm:[1,0,3,2] row_mask:0xf bank_mask:0xf
	v_cmp_eq_u32_e64 s0, 1, v4
	v_mov_b32_dpp v4, v2 quad_perm:[1,0,3,2] row_mask:0xf bank_mask:0xf
	v_and_b32_e32 v3, 1, v3
	v_cmp_eq_u32_e32 vcc_lo, 1, v3
	v_mov_b32_dpp v3, v1 quad_perm:[1,0,3,2] row_mask:0xf bank_mask:0xf
	s_and_b32 s0, vcc_lo, s0
	s_xor_b32 s0, s0, -1
	s_and_saveexec_b32 s1, s0
	s_xor_b32 s0, exec_lo, s1
	s_cbranch_execz .LBB9_11
; %bb.8:
	v_mov_b32_e32 v6, 1
	s_xor_b32 s7, vcc_lo, -1
	s_and_saveexec_b32 s1, s7
; %bb.9:
	v_mov_b32_e32 v4, v2
	v_mov_b32_e32 v3, v1
	;; [unrolled: 1-line block ×3, first 2 shown]
; %bb.10:
	s_or_b32 exec_lo, exec_lo, s1
                                        ; implicit-def: $vgpr1
.LBB9_11:
	s_andn2_saveexec_b32 s0, s0
; %bb.12:
	v_cmp_lt_f32_e32 vcc_lo, v1, v3
	v_mov_b32_e32 v6, 1
	v_cndmask_b32_e32 v3, v3, v1, vcc_lo
	v_cmp_gt_f32_e32 vcc_lo, v2, v4
	v_cndmask_b32_e32 v4, v4, v2, vcc_lo
; %bb.13:
	s_or_b32 exec_lo, exec_lo, s0
	v_mov_b32_dpp v1, v6 quad_perm:[2,3,0,1] row_mask:0xf bank_mask:0xf
	v_mov_b32_dpp v5, v4 quad_perm:[2,3,0,1] row_mask:0xf bank_mask:0xf
	v_and_b32_e32 v2, v1, v6
	v_and_b32_e32 v7, 1, v1
	v_mov_b32_dpp v1, v3 quad_perm:[2,3,0,1] row_mask:0xf bank_mask:0xf
	v_and_b32_e32 v2, 1, v2
	v_cmp_ne_u32_e32 vcc_lo, 1, v7
                                        ; implicit-def: $vgpr7
	v_cmp_ne_u32_e64 s0, 1, v2
	s_and_saveexec_b32 s1, s0
	s_xor_b32 s0, exec_lo, s1
	s_cbranch_execz .LBB9_17
; %bb.14:
	v_mov_b32_e32 v7, 1
	s_and_saveexec_b32 s1, vcc_lo
; %bb.15:
	v_mov_b32_e32 v5, v4
	v_mov_b32_e32 v1, v3
	;; [unrolled: 1-line block ×3, first 2 shown]
; %bb.16:
	s_or_b32 exec_lo, exec_lo, s1
                                        ; implicit-def: $vgpr3
                                        ; implicit-def: $vgpr4
.LBB9_17:
	s_andn2_saveexec_b32 s0, s0
; %bb.18:
	v_cmp_lt_f32_e32 vcc_lo, v3, v1
	v_mov_b32_e32 v7, 1
	v_cndmask_b32_e32 v1, v1, v3, vcc_lo
	v_cmp_gt_f32_e32 vcc_lo, v4, v5
	v_cndmask_b32_e32 v5, v5, v4, vcc_lo
; %bb.19:
	s_or_b32 exec_lo, exec_lo, s0
	v_mov_b32_dpp v2, v7 row_ror:4 row_mask:0xf bank_mask:0xf
	v_and_b32_e32 v3, v2, v7
	v_and_b32_e32 v4, 1, v2
	v_mov_b32_dpp v2, v1 row_ror:4 row_mask:0xf bank_mask:0xf
	v_and_b32_e32 v6, 1, v3
	v_mov_b32_dpp v3, v5 row_ror:4 row_mask:0xf bank_mask:0xf
	v_cmp_ne_u32_e32 vcc_lo, 1, v4
	v_cmp_ne_u32_e64 s0, 1, v6
                                        ; implicit-def: $vgpr6
	s_and_saveexec_b32 s1, s0
	s_xor_b32 s0, exec_lo, s1
	s_cbranch_execz .LBB9_23
; %bb.20:
	v_mov_b32_e32 v6, 1
	s_and_saveexec_b32 s1, vcc_lo
; %bb.21:
	v_mov_b32_e32 v3, v5
	v_mov_b32_e32 v2, v1
	;; [unrolled: 1-line block ×3, first 2 shown]
; %bb.22:
	s_or_b32 exec_lo, exec_lo, s1
                                        ; implicit-def: $vgpr1
                                        ; implicit-def: $vgpr5
.LBB9_23:
	s_andn2_saveexec_b32 s0, s0
; %bb.24:
	v_cmp_lt_f32_e32 vcc_lo, v1, v2
	v_mov_b32_e32 v6, 1
	v_cndmask_b32_e32 v2, v2, v1, vcc_lo
	v_cmp_gt_f32_e32 vcc_lo, v5, v3
	v_cndmask_b32_e32 v3, v3, v5, vcc_lo
; %bb.25:
	s_or_b32 exec_lo, exec_lo, s0
	v_mov_b32_dpp v1, v6 row_ror:8 row_mask:0xf bank_mask:0xf
	v_and_b32_e32 v4, v1, v6
	v_and_b32_e32 v5, 1, v1
	v_mov_b32_dpp v1, v2 row_ror:8 row_mask:0xf bank_mask:0xf
	v_and_b32_e32 v7, 1, v4
	v_mov_b32_dpp v4, v3 row_ror:8 row_mask:0xf bank_mask:0xf
	v_cmp_ne_u32_e32 vcc_lo, 1, v5
                                        ; implicit-def: $vgpr5
	v_cmp_ne_u32_e64 s0, 1, v7
	s_and_saveexec_b32 s1, s0
	s_xor_b32 s0, exec_lo, s1
	s_cbranch_execz .LBB9_29
; %bb.26:
	v_mov_b32_e32 v5, 1
	s_and_saveexec_b32 s1, vcc_lo
; %bb.27:
	v_mov_b32_e32 v4, v3
	v_mov_b32_e32 v1, v2
	;; [unrolled: 1-line block ×3, first 2 shown]
; %bb.28:
	s_or_b32 exec_lo, exec_lo, s1
                                        ; implicit-def: $vgpr2
                                        ; implicit-def: $vgpr3
.LBB9_29:
	s_andn2_saveexec_b32 s0, s0
; %bb.30:
	v_cmp_lt_f32_e32 vcc_lo, v2, v1
	v_mov_b32_e32 v5, 1
	v_cndmask_b32_e32 v1, v1, v2, vcc_lo
	v_cmp_gt_f32_e32 vcc_lo, v3, v4
	v_cndmask_b32_e32 v4, v4, v3, vcc_lo
; %bb.31:
	s_or_b32 exec_lo, exec_lo, s0
	ds_swizzle_b32 v6, v5 offset:swizzle(BROADCAST,32,15)
	ds_swizzle_b32 v3, v1 offset:swizzle(BROADCAST,32,15)
	;; [unrolled: 1-line block ×3, first 2 shown]
	s_waitcnt lgkmcnt(2)
	v_and_b32_e32 v7, v6, v5
	v_and_b32_e32 v6, 1, v6
	;; [unrolled: 1-line block ×3, first 2 shown]
	v_cmp_ne_u32_e32 vcc_lo, 1, v6
                                        ; implicit-def: $vgpr6
	v_cmp_ne_u32_e64 s0, 1, v7
	s_and_saveexec_b32 s1, s0
	s_xor_b32 s0, exec_lo, s1
	s_cbranch_execz .LBB9_35
; %bb.32:
	v_mov_b32_e32 v6, 1
	s_and_saveexec_b32 s1, vcc_lo
	s_cbranch_execz .LBB9_34
; %bb.33:
	s_waitcnt lgkmcnt(0)
	v_mov_b32_e32 v2, v4
	v_mov_b32_e32 v3, v1
	;; [unrolled: 1-line block ×3, first 2 shown]
.LBB9_34:
	s_or_b32 exec_lo, exec_lo, s1
                                        ; implicit-def: $vgpr1
                                        ; implicit-def: $vgpr4
.LBB9_35:
	s_andn2_saveexec_b32 s0, s0
	s_cbranch_execz .LBB9_37
; %bb.36:
	s_waitcnt lgkmcnt(1)
	v_cmp_lt_f32_e32 vcc_lo, v1, v3
	v_mov_b32_e32 v6, 1
	v_cndmask_b32_e32 v3, v3, v1, vcc_lo
	s_waitcnt lgkmcnt(0)
	v_cmp_gt_f32_e32 vcc_lo, v4, v2
	v_cndmask_b32_e32 v2, v2, v4, vcc_lo
.LBB9_37:
	s_or_b32 exec_lo, exec_lo, s0
	v_mov_b32_e32 v5, 0
	s_mov_b32 s0, exec_lo
	ds_bpermute_b32 v4, v5, v6 offset:124
	s_waitcnt lgkmcnt(2)
	ds_bpermute_b32 v1, v5, v3 offset:124
	s_waitcnt lgkmcnt(2)
	ds_bpermute_b32 v2, v5, v2 offset:124
	v_mbcnt_lo_u32_b32 v3, -1, 0
	v_cmpx_eq_u32_e32 0, v3
	s_cbranch_execz .LBB9_39
; %bb.38:
	v_lshrrev_b32_e32 v5, 5, v0
	v_mul_u32_u24_e32 v5, 12, v5
	s_waitcnt lgkmcnt(2)
	ds_write_b8 v5, v4 offset:96
	s_waitcnt lgkmcnt(1)
	ds_write2_b32 v5, v1, v2 offset0:25 offset1:26
.LBB9_39:
	s_or_b32 exec_lo, exec_lo, s0
	s_mov_b32 s0, exec_lo
	s_waitcnt lgkmcnt(0)
	s_barrier
	buffer_gl0_inv
	v_cmpx_gt_u32_e32 32, v0
	s_cbranch_execz .LBB9_59
; %bb.40:
	v_and_b32_e32 v5, 7, v3
	s_mov_b32 s1, exec_lo
	v_mul_u32_u24_e32 v1, 12, v5
	v_cmp_ne_u32_e32 vcc_lo, 7, v5
	ds_read_u8 v9, v1 offset:96
	v_add_co_ci_u32_e64 v4, null, 0, v3, vcc_lo
	ds_read2_b32 v[1:2], v1 offset0:25 offset1:26
	v_lshlrev_b32_e32 v4, 2, v4
	s_waitcnt lgkmcnt(1)
	v_and_b32_e32 v6, 0xff, v9
	ds_bpermute_b32 v7, v4, v6
	s_waitcnt lgkmcnt(1)
	ds_bpermute_b32 v6, v4, v1
	ds_bpermute_b32 v4, v4, v2
	s_waitcnt lgkmcnt(2)
	v_and_b32_e32 v8, v9, v7
	v_and_b32_e32 v8, 1, v8
	v_cmpx_eq_u32_e32 1, v8
	s_xor_b32 s1, exec_lo, s1
	s_cbranch_execz .LBB9_42
; %bb.41:
	s_waitcnt lgkmcnt(1)
	v_cmp_gt_f32_e32 vcc_lo, v1, v6
                                        ; implicit-def: $vgpr7
                                        ; implicit-def: $vgpr9
	v_cndmask_b32_e32 v6, v1, v6, vcc_lo
	s_waitcnt lgkmcnt(0)
	v_cmp_lt_f32_e32 vcc_lo, v2, v4
	v_cndmask_b32_e32 v4, v2, v4, vcc_lo
                                        ; implicit-def: $vgpr2
.LBB9_42:
	s_or_saveexec_b32 s1, s1
	v_mov_b32_e32 v8, 1
	s_xor_b32 exec_lo, exec_lo, s1
	s_cbranch_execz .LBB9_46
; %bb.43:
	v_and_b32_e32 v8, 1, v9
	s_mov_b32 s7, exec_lo
	v_cmpx_eq_u32_e32 1, v8
	s_cbranch_execz .LBB9_45
; %bb.44:
	v_mov_b32_e32 v7, 1
	s_waitcnt lgkmcnt(0)
	v_mov_b32_e32 v4, v2
	v_mov_b32_e32 v6, v1
.LBB9_45:
	s_or_b32 exec_lo, exec_lo, s7
	v_mov_b32_e32 v8, v7
.LBB9_46:
	s_or_b32 exec_lo, exec_lo, s1
	v_cmp_gt_u32_e32 vcc_lo, 6, v5
	v_and_b32_e32 v2, 0xff, v8
	s_mov_b32 s1, exec_lo
	v_cndmask_b32_e64 v1, 0, 2, vcc_lo
	v_add_lshl_u32 v5, v1, v3, 2
	ds_bpermute_b32 v1, v5, v2
	s_waitcnt lgkmcnt(2)
	ds_bpermute_b32 v7, v5, v6
	s_waitcnt lgkmcnt(2)
	;; [unrolled: 2-line block ×3, first 2 shown]
	v_and_b32_e32 v2, v8, v1
	v_and_b32_e32 v2, 1, v2
	v_cmpx_eq_u32_e32 1, v2
	s_xor_b32 s1, exec_lo, s1
	s_cbranch_execz .LBB9_48
; %bb.47:
	s_waitcnt lgkmcnt(1)
	v_cmp_gt_f32_e32 vcc_lo, v6, v7
                                        ; implicit-def: $vgpr1
                                        ; implicit-def: $vgpr8
	v_cndmask_b32_e32 v7, v6, v7, vcc_lo
	s_waitcnt lgkmcnt(0)
	v_cmp_lt_f32_e32 vcc_lo, v4, v5
                                        ; implicit-def: $vgpr6
	v_cndmask_b32_e32 v5, v4, v5, vcc_lo
                                        ; implicit-def: $vgpr4
.LBB9_48:
	s_or_saveexec_b32 s1, s1
	v_lshlrev_b32_e32 v2, 2, v3
	v_mov_b32_e32 v9, 1
	s_xor_b32 exec_lo, exec_lo, s1
	s_cbranch_execz .LBB9_52
; %bb.49:
	v_and_b32_e32 v3, 1, v8
	s_mov_b32 s7, exec_lo
	v_cmpx_eq_u32_e32 1, v3
	s_cbranch_execz .LBB9_51
; %bb.50:
	v_mov_b32_e32 v1, 1
	s_waitcnt lgkmcnt(0)
	v_mov_b32_e32 v5, v4
	v_mov_b32_e32 v7, v6
.LBB9_51:
	s_or_b32 exec_lo, exec_lo, s7
	v_mov_b32_e32 v9, v1
.LBB9_52:
	s_or_b32 exec_lo, exec_lo, s1
	v_and_b32_e32 v1, 0xff, v9
	v_or_b32_e32 v2, 16, v2
	s_mov_b32 s1, exec_lo
	ds_bpermute_b32 v3, v2, v1
	s_waitcnt lgkmcnt(2)
	ds_bpermute_b32 v1, v2, v7
	s_waitcnt lgkmcnt(2)
	;; [unrolled: 2-line block ×3, first 2 shown]
	v_and_b32_e32 v4, v9, v3
	v_and_b32_e32 v4, 1, v4
	v_cmpx_eq_u32_e32 1, v4
	s_xor_b32 s1, exec_lo, s1
	s_cbranch_execz .LBB9_54
; %bb.53:
	s_waitcnt lgkmcnt(1)
	v_cmp_gt_f32_e32 vcc_lo, v7, v1
                                        ; implicit-def: $vgpr3
                                        ; implicit-def: $vgpr9
	v_cndmask_b32_e32 v1, v7, v1, vcc_lo
	s_waitcnt lgkmcnt(0)
	v_cmp_lt_f32_e32 vcc_lo, v5, v2
                                        ; implicit-def: $vgpr7
	v_cndmask_b32_e32 v2, v5, v2, vcc_lo
                                        ; implicit-def: $vgpr5
.LBB9_54:
	s_or_saveexec_b32 s1, s1
	v_mov_b32_e32 v4, 1
	s_xor_b32 exec_lo, exec_lo, s1
	s_cbranch_execz .LBB9_58
; %bb.55:
	v_and_b32_e32 v4, 1, v9
	s_mov_b32 s7, exec_lo
	v_cmpx_eq_u32_e32 1, v4
	s_cbranch_execz .LBB9_57
; %bb.56:
	v_mov_b32_e32 v3, 1
	s_waitcnt lgkmcnt(0)
	v_mov_b32_e32 v2, v5
	v_mov_b32_e32 v1, v7
.LBB9_57:
	s_or_b32 exec_lo, exec_lo, s7
	v_mov_b32_e32 v4, v3
.LBB9_58:
	s_or_b32 exec_lo, exec_lo, s1
.LBB9_59:
	s_or_b32 exec_lo, exec_lo, s0
	s_load_dwordx2 s[0:1], s[4:5], 0x34
	s_branch .LBB9_142
.LBB9_60:
                                        ; implicit-def: $vgpr2
                                        ; implicit-def: $vgpr4
	s_load_dwordx2 s[0:1], s[4:5], 0x34
	s_cbranch_execz .LBB9_142
; %bb.61:
	v_mov_b32_e32 v6, 0
	v_mov_b32_e32 v3, 0
	s_waitcnt lgkmcnt(0)
	v_mov_b32_e32 v2, 0
	v_mov_b32_e32 v1, 0
	s_sub_i32 s7, s12, s8
	s_mov_b32 s8, exec_lo
	v_cmpx_gt_u32_e64 s7, v0
	s_cbranch_execz .LBB9_63
; %bb.62:
	v_mad_u64_u32 v[1:2], null, v0, 12, s[2:3]
	s_clause 0x1
	global_load_ubyte v6, v[1:2], off
	global_load_dwordx2 v[1:2], v[1:2], off offset:4
.LBB9_63:
	s_or_b32 exec_lo, exec_lo, s8
	v_or_b32_e32 v7, 0x100, v0
	v_mov_b32_e32 v5, 0
	v_mov_b32_e32 v4, 0
	v_cmp_gt_u32_e32 vcc_lo, s7, v7
	s_and_saveexec_b32 s8, vcc_lo
	s_cbranch_execz .LBB9_65
; %bb.64:
	v_mad_u64_u32 v[3:4], null, v7, 12, s[2:3]
	s_clause 0x1
	global_load_ubyte v5, v[3:4], off
	global_load_dwordx2 v[3:4], v[3:4], off offset:4
.LBB9_65:
	s_or_b32 exec_lo, exec_lo, s8
	s_and_saveexec_b32 s2, vcc_lo
	s_cbranch_execz .LBB9_73
; %bb.66:
	s_waitcnt vmcnt(1)
	v_and_b32_e32 v7, v5, v6
	v_mov_b32_e32 v8, 0
	v_cmp_ne_u16_sdwa s3, v7, v8 src0_sel:BYTE_0 src1_sel:DWORD
	s_and_saveexec_b32 s8, s3
	s_xor_b32 s3, exec_lo, s8
	s_cbranch_execz .LBB9_68
; %bb.67:
	s_waitcnt vmcnt(0)
	v_cmp_lt_f32_e32 vcc_lo, v3, v1
                                        ; implicit-def: $vgpr5
                                        ; implicit-def: $vgpr6
	v_cndmask_b32_e32 v1, v1, v3, vcc_lo
	v_cmp_lt_f32_e32 vcc_lo, v2, v4
	v_cndmask_b32_e32 v2, v2, v4, vcc_lo
                                        ; implicit-def: $vgpr4
.LBB9_68:
	s_or_saveexec_b32 s3, s3
	v_mov_b32_e32 v7, 1
	s_xor_b32 exec_lo, exec_lo, s3
	s_cbranch_execz .LBB9_72
; %bb.69:
	v_and_b32_e32 v6, 1, v6
	v_mov_b32_e32 v7, 1
	v_cmp_eq_u32_e32 vcc_lo, 1, v6
	s_xor_b32 s9, vcc_lo, -1
	s_and_saveexec_b32 s8, s9
	s_cbranch_execz .LBB9_71
; %bb.70:
	s_waitcnt vmcnt(0)
	v_mov_b32_e32 v2, v4
	v_mov_b32_e32 v1, v3
	;; [unrolled: 1-line block ×3, first 2 shown]
.LBB9_71:
	s_or_b32 exec_lo, exec_lo, s8
.LBB9_72:
	s_or_b32 exec_lo, exec_lo, s3
	v_mov_b32_e32 v6, v7
.LBB9_73:
	s_or_b32 exec_lo, exec_lo, s2
	s_waitcnt vmcnt(0)
	v_mbcnt_lo_u32_b32 v3, -1, 0
	v_and_b32_e32 v4, 0xff, v6
	s_min_u32 s2, s7, 0x100
	s_mov_b32 s3, exec_lo
	v_cmp_ne_u32_e32 vcc_lo, 31, v3
	v_add_nc_u32_e32 v10, 1, v3
	v_add_co_ci_u32_e64 v5, null, 0, v3, vcc_lo
	v_lshlrev_b32_e32 v5, 2, v5
	ds_bpermute_b32 v9, v5, v4
	ds_bpermute_b32 v7, v5, v1
	;; [unrolled: 1-line block ×3, first 2 shown]
	v_and_b32_e32 v5, 0xe0, v0
	v_sub_nc_u32_e64 v5, s2, v5 clamp
	v_cmpx_lt_u32_e64 v10, v5
	s_xor_b32 s3, exec_lo, s3
	s_cbranch_execz .LBB9_81
; %bb.74:
	s_waitcnt lgkmcnt(2)
	v_and_b32_e32 v4, v9, v4
	s_mov_b32 s7, exec_lo
	v_cmpx_ne_u32_e32 0, v4
	s_xor_b32 s7, exec_lo, s7
	s_cbranch_execz .LBB9_76
; %bb.75:
	s_waitcnt lgkmcnt(1)
	v_cmp_gt_f32_e32 vcc_lo, v1, v7
                                        ; implicit-def: $vgpr9
                                        ; implicit-def: $vgpr6
	v_cndmask_b32_e32 v7, v1, v7, vcc_lo
	s_waitcnt lgkmcnt(0)
	v_cmp_lt_f32_e32 vcc_lo, v2, v8
	v_cndmask_b32_e32 v8, v2, v8, vcc_lo
                                        ; implicit-def: $vgpr2
.LBB9_76:
	s_or_saveexec_b32 s7, s7
	v_mov_b32_e32 v4, 1
	s_xor_b32 exec_lo, exec_lo, s7
	s_cbranch_execz .LBB9_80
; %bb.77:
	v_and_b32_e32 v4, 1, v6
	s_mov_b32 s8, exec_lo
	v_cmpx_eq_u32_e32 1, v4
	s_cbranch_execz .LBB9_79
; %bb.78:
	v_mov_b32_e32 v9, 1
	s_waitcnt lgkmcnt(0)
	v_mov_b32_e32 v8, v2
	v_mov_b32_e32 v7, v1
.LBB9_79:
	s_or_b32 exec_lo, exec_lo, s8
	v_mov_b32_e32 v4, v9
.LBB9_80:
	s_or_b32 exec_lo, exec_lo, s7
	v_and_b32_e32 v4, 0xff, v4
	s_waitcnt lgkmcnt(1)
	v_mov_b32_e32 v1, v7
	s_waitcnt lgkmcnt(0)
	v_mov_b32_e32 v2, v8
.LBB9_81:
	s_or_b32 exec_lo, exec_lo, s3
	v_cmp_gt_u32_e32 vcc_lo, 30, v3
	s_waitcnt lgkmcnt(2)
	v_add_nc_u32_e32 v9, 2, v3
	s_mov_b32 s3, exec_lo
	v_cndmask_b32_e64 v6, 0, 2, vcc_lo
	v_add_lshl_u32 v6, v6, v3, 2
	s_waitcnt lgkmcnt(0)
	ds_bpermute_b32 v8, v6, v4
	ds_bpermute_b32 v7, v6, v1
	;; [unrolled: 1-line block ×3, first 2 shown]
	v_cmpx_lt_u32_e64 v9, v5
	s_cbranch_execz .LBB9_89
; %bb.82:
	s_waitcnt lgkmcnt(2)
	v_and_b32_e32 v9, v4, v8
	s_mov_b32 s7, exec_lo
	v_and_b32_e32 v9, 1, v9
	v_cmpx_eq_u32_e32 1, v9
	s_xor_b32 s7, exec_lo, s7
	s_cbranch_execz .LBB9_84
; %bb.83:
	s_waitcnt lgkmcnt(1)
	v_cmp_gt_f32_e32 vcc_lo, v1, v7
                                        ; implicit-def: $vgpr8
                                        ; implicit-def: $vgpr4
	v_cndmask_b32_e32 v7, v1, v7, vcc_lo
	s_waitcnt lgkmcnt(0)
	v_cmp_lt_f32_e32 vcc_lo, v2, v6
	v_cndmask_b32_e32 v6, v2, v6, vcc_lo
                                        ; implicit-def: $vgpr2
.LBB9_84:
	s_or_saveexec_b32 s7, s7
	v_mov_b32_e32 v9, 1
	s_xor_b32 exec_lo, exec_lo, s7
	s_cbranch_execz .LBB9_88
; %bb.85:
	v_and_b32_e32 v4, 1, v4
	s_mov_b32 s8, exec_lo
	v_cmpx_eq_u32_e32 1, v4
	s_cbranch_execz .LBB9_87
; %bb.86:
	v_mov_b32_e32 v8, 1
	s_waitcnt lgkmcnt(0)
	v_mov_b32_e32 v6, v2
	v_mov_b32_e32 v7, v1
.LBB9_87:
	s_or_b32 exec_lo, exec_lo, s8
	v_mov_b32_e32 v9, v8
.LBB9_88:
	s_or_b32 exec_lo, exec_lo, s7
	v_and_b32_e32 v4, 0xff, v9
	s_waitcnt lgkmcnt(1)
	v_mov_b32_e32 v1, v7
	s_waitcnt lgkmcnt(0)
	v_mov_b32_e32 v2, v6
.LBB9_89:
	s_or_b32 exec_lo, exec_lo, s3
	v_cmp_gt_u32_e32 vcc_lo, 28, v3
	v_add_nc_u32_e32 v9, 4, v3
	s_mov_b32 s3, exec_lo
	s_waitcnt lgkmcnt(0)
	v_cndmask_b32_e64 v6, 0, 4, vcc_lo
	v_add_lshl_u32 v6, v6, v3, 2
	ds_bpermute_b32 v8, v6, v4
	ds_bpermute_b32 v7, v6, v1
	;; [unrolled: 1-line block ×3, first 2 shown]
	v_cmpx_lt_u32_e64 v9, v5
	s_cbranch_execz .LBB9_97
; %bb.90:
	s_waitcnt lgkmcnt(2)
	v_and_b32_e32 v9, v4, v8
	s_mov_b32 s7, exec_lo
	v_and_b32_e32 v9, 1, v9
	v_cmpx_eq_u32_e32 1, v9
	s_xor_b32 s7, exec_lo, s7
	s_cbranch_execz .LBB9_92
; %bb.91:
	s_waitcnt lgkmcnt(1)
	v_cmp_gt_f32_e32 vcc_lo, v1, v7
                                        ; implicit-def: $vgpr8
                                        ; implicit-def: $vgpr4
	v_cndmask_b32_e32 v7, v1, v7, vcc_lo
	s_waitcnt lgkmcnt(0)
	v_cmp_lt_f32_e32 vcc_lo, v2, v6
	v_cndmask_b32_e32 v6, v2, v6, vcc_lo
                                        ; implicit-def: $vgpr2
.LBB9_92:
	s_or_saveexec_b32 s7, s7
	v_mov_b32_e32 v9, 1
	s_xor_b32 exec_lo, exec_lo, s7
	s_cbranch_execz .LBB9_96
; %bb.93:
	v_and_b32_e32 v4, 1, v4
	s_mov_b32 s8, exec_lo
	v_cmpx_eq_u32_e32 1, v4
	s_cbranch_execz .LBB9_95
; %bb.94:
	v_mov_b32_e32 v8, 1
	s_waitcnt lgkmcnt(0)
	v_mov_b32_e32 v6, v2
	v_mov_b32_e32 v7, v1
.LBB9_95:
	s_or_b32 exec_lo, exec_lo, s8
	v_mov_b32_e32 v9, v8
.LBB9_96:
	s_or_b32 exec_lo, exec_lo, s7
	v_and_b32_e32 v4, 0xff, v9
	s_waitcnt lgkmcnt(1)
	v_mov_b32_e32 v1, v7
	s_waitcnt lgkmcnt(0)
	v_mov_b32_e32 v2, v6
.LBB9_97:
	s_or_b32 exec_lo, exec_lo, s3
	v_cmp_gt_u32_e32 vcc_lo, 24, v3
	v_add_nc_u32_e32 v9, 8, v3
	s_mov_b32 s3, exec_lo
	s_waitcnt lgkmcnt(0)
	v_cndmask_b32_e64 v6, 0, 8, vcc_lo
	v_add_lshl_u32 v6, v6, v3, 2
	ds_bpermute_b32 v8, v6, v4
	ds_bpermute_b32 v7, v6, v1
	;; [unrolled: 1-line block ×3, first 2 shown]
	v_cmpx_lt_u32_e64 v9, v5
	s_cbranch_execz .LBB9_105
; %bb.98:
	s_waitcnt lgkmcnt(2)
	v_and_b32_e32 v9, v4, v8
	s_mov_b32 s7, exec_lo
	v_and_b32_e32 v9, 1, v9
	v_cmpx_eq_u32_e32 1, v9
	s_xor_b32 s7, exec_lo, s7
	s_cbranch_execz .LBB9_100
; %bb.99:
	s_waitcnt lgkmcnt(1)
	v_cmp_gt_f32_e32 vcc_lo, v1, v7
                                        ; implicit-def: $vgpr8
                                        ; implicit-def: $vgpr4
	v_cndmask_b32_e32 v7, v1, v7, vcc_lo
	s_waitcnt lgkmcnt(0)
	v_cmp_lt_f32_e32 vcc_lo, v2, v6
	v_cndmask_b32_e32 v6, v2, v6, vcc_lo
                                        ; implicit-def: $vgpr2
.LBB9_100:
	s_or_saveexec_b32 s7, s7
	v_mov_b32_e32 v9, 1
	s_xor_b32 exec_lo, exec_lo, s7
	s_cbranch_execz .LBB9_104
; %bb.101:
	v_and_b32_e32 v4, 1, v4
	s_mov_b32 s8, exec_lo
	v_cmpx_eq_u32_e32 1, v4
	s_cbranch_execz .LBB9_103
; %bb.102:
	v_mov_b32_e32 v8, 1
	s_waitcnt lgkmcnt(0)
	v_mov_b32_e32 v6, v2
	v_mov_b32_e32 v7, v1
.LBB9_103:
	s_or_b32 exec_lo, exec_lo, s8
	v_mov_b32_e32 v9, v8
.LBB9_104:
	s_or_b32 exec_lo, exec_lo, s7
	v_and_b32_e32 v4, 0xff, v9
	s_waitcnt lgkmcnt(1)
	v_mov_b32_e32 v1, v7
	s_waitcnt lgkmcnt(0)
	v_mov_b32_e32 v2, v6
.LBB9_105:
	s_or_b32 exec_lo, exec_lo, s3
	s_waitcnt lgkmcnt(0)
	v_lshlrev_b32_e32 v6, 2, v3
	v_add_nc_u32_e32 v10, 16, v3
	v_or_b32_e32 v8, 64, v6
	v_cmp_lt_u32_e32 vcc_lo, v10, v5
	v_mov_b32_e32 v5, v4
	ds_bpermute_b32 v9, v8, v4
	ds_bpermute_b32 v7, v8, v1
	;; [unrolled: 1-line block ×3, first 2 shown]
	s_and_saveexec_b32 s3, vcc_lo
	s_cbranch_execz .LBB9_113
; %bb.106:
	s_waitcnt lgkmcnt(2)
	v_and_b32_e32 v5, v4, v9
	s_mov_b32 s7, exec_lo
	v_and_b32_e32 v5, 1, v5
	v_cmpx_eq_u32_e32 1, v5
	s_xor_b32 s7, exec_lo, s7
	s_cbranch_execz .LBB9_108
; %bb.107:
	s_waitcnt lgkmcnt(1)
	v_cmp_gt_f32_e32 vcc_lo, v1, v7
                                        ; implicit-def: $vgpr9
                                        ; implicit-def: $vgpr4
	v_cndmask_b32_e32 v7, v1, v7, vcc_lo
	s_waitcnt lgkmcnt(0)
	v_cmp_lt_f32_e32 vcc_lo, v2, v8
	v_cndmask_b32_e32 v8, v2, v8, vcc_lo
                                        ; implicit-def: $vgpr2
.LBB9_108:
	s_or_saveexec_b32 s7, s7
	v_mov_b32_e32 v5, 1
	s_xor_b32 exec_lo, exec_lo, s7
	s_cbranch_execz .LBB9_112
; %bb.109:
	v_and_b32_e32 v4, 1, v4
	s_mov_b32 s8, exec_lo
	v_cmpx_eq_u32_e32 1, v4
	s_cbranch_execz .LBB9_111
; %bb.110:
	v_mov_b32_e32 v9, 1
	s_waitcnt lgkmcnt(0)
	v_mov_b32_e32 v8, v2
	v_mov_b32_e32 v7, v1
.LBB9_111:
	s_or_b32 exec_lo, exec_lo, s8
	v_mov_b32_e32 v5, v9
.LBB9_112:
	s_or_b32 exec_lo, exec_lo, s7
	v_and_b32_e32 v4, 0xff, v5
	s_waitcnt lgkmcnt(0)
	v_mov_b32_e32 v2, v8
	v_mov_b32_e32 v1, v7
.LBB9_113:
	s_or_b32 exec_lo, exec_lo, s3
	s_mov_b32 s3, exec_lo
	v_cmpx_eq_u32_e32 0, v3
	s_cbranch_execz .LBB9_115
; %bb.114:
	s_waitcnt lgkmcnt(1)
	v_lshrrev_b32_e32 v7, 5, v0
	v_mul_u32_u24_e32 v7, 12, v7
	ds_write_b8 v7, v5
	ds_write2_b32 v7, v1, v2 offset0:1 offset1:2
.LBB9_115:
	s_or_b32 exec_lo, exec_lo, s3
	s_mov_b32 s3, exec_lo
	s_waitcnt lgkmcnt(0)
	s_barrier
	buffer_gl0_inv
	v_cmpx_gt_u32_e32 8, v0
	s_cbranch_execz .LBB9_141
; %bb.116:
	v_mul_u32_u24_e32 v1, 12, v3
	v_and_b32_e32 v5, 7, v3
	s_add_i32 s2, s2, 31
	ds_read_u8 v10, v1
	ds_read2_b32 v[1:2], v1 offset0:1 offset1:2
	v_cmp_ne_u32_e32 vcc_lo, 7, v5
	v_add_nc_u32_e32 v11, 1, v5
	s_lshr_b32 s2, s2, 5
	v_add_co_ci_u32_e64 v4, null, 0, v3, vcc_lo
	v_cmp_gt_u32_e32 vcc_lo, s2, v11
	v_lshlrev_b32_e32 v8, 2, v4
	s_waitcnt lgkmcnt(1)
	v_and_b32_e32 v4, 0xff, v10
	s_waitcnt lgkmcnt(0)
	ds_bpermute_b32 v7, v8, v1
	v_mov_b32_e32 v11, v1
	v_mov_b32_e32 v12, v2
	ds_bpermute_b32 v9, v8, v4
	ds_bpermute_b32 v8, v8, v2
	s_and_saveexec_b32 s7, vcc_lo
	s_cbranch_execz .LBB9_124
; %bb.117:
	s_waitcnt lgkmcnt(1)
	v_and_b32_e32 v4, v4, v9
	s_mov_b32 s8, exec_lo
	v_and_b32_e32 v4, 1, v4
	v_cmpx_eq_u32_e32 1, v4
	s_xor_b32 s8, exec_lo, s8
	s_cbranch_execz .LBB9_119
; %bb.118:
	v_cmp_gt_f32_e32 vcc_lo, v1, v7
                                        ; implicit-def: $vgpr9
                                        ; implicit-def: $vgpr10
	v_cndmask_b32_e32 v7, v1, v7, vcc_lo
	s_waitcnt lgkmcnt(0)
	v_cmp_lt_f32_e32 vcc_lo, v2, v8
	v_cndmask_b32_e32 v8, v2, v8, vcc_lo
                                        ; implicit-def: $vgpr2
.LBB9_119:
	s_or_saveexec_b32 s8, s8
	v_mov_b32_e32 v4, 1
	s_xor_b32 exec_lo, exec_lo, s8
	s_cbranch_execz .LBB9_123
; %bb.120:
	v_and_b32_e32 v4, 1, v10
	s_mov_b32 s9, exec_lo
	v_cmpx_eq_u32_e32 1, v4
	s_cbranch_execz .LBB9_122
; %bb.121:
	v_mov_b32_e32 v9, 1
	s_waitcnt lgkmcnt(0)
	v_mov_b32_e32 v8, v2
	v_mov_b32_e32 v7, v1
.LBB9_122:
	s_or_b32 exec_lo, exec_lo, s9
	v_mov_b32_e32 v4, v9
.LBB9_123:
	s_or_b32 exec_lo, exec_lo, s8
	v_and_b32_e32 v4, 0xff, v4
	v_mov_b32_e32 v11, v7
	s_waitcnt lgkmcnt(0)
	v_mov_b32_e32 v12, v8
	v_mov_b32_e32 v2, v8
	;; [unrolled: 1-line block ×3, first 2 shown]
.LBB9_124:
	s_or_b32 exec_lo, exec_lo, s7
	v_cmp_gt_u32_e32 vcc_lo, 6, v5
	s_waitcnt lgkmcnt(1)
	v_add_nc_u32_e32 v9, 2, v5
	s_mov_b32 s7, exec_lo
	v_cndmask_b32_e64 v7, 0, 2, vcc_lo
	v_add_lshl_u32 v7, v7, v3, 2
	s_waitcnt lgkmcnt(0)
	ds_bpermute_b32 v8, v7, v4
	ds_bpermute_b32 v3, v7, v11
	;; [unrolled: 1-line block ×3, first 2 shown]
	v_cmpx_gt_u32_e64 s2, v9
	s_cbranch_execz .LBB9_132
; %bb.125:
	s_waitcnt lgkmcnt(2)
	v_and_b32_e32 v9, v4, v8
	s_mov_b32 s8, exec_lo
	v_and_b32_e32 v9, 1, v9
	v_cmpx_eq_u32_e32 1, v9
	s_xor_b32 s8, exec_lo, s8
	s_cbranch_execz .LBB9_127
; %bb.126:
	s_waitcnt lgkmcnt(1)
	v_cmp_gt_f32_e32 vcc_lo, v1, v3
                                        ; implicit-def: $vgpr8
                                        ; implicit-def: $vgpr4
	v_cndmask_b32_e32 v3, v1, v3, vcc_lo
	s_waitcnt lgkmcnt(0)
	v_cmp_lt_f32_e32 vcc_lo, v2, v7
	v_cndmask_b32_e32 v7, v2, v7, vcc_lo
                                        ; implicit-def: $vgpr2
.LBB9_127:
	s_or_saveexec_b32 s8, s8
	v_mov_b32_e32 v9, 1
	s_xor_b32 exec_lo, exec_lo, s8
	s_cbranch_execz .LBB9_131
; %bb.128:
	v_and_b32_e32 v4, 1, v4
	s_mov_b32 s9, exec_lo
	v_cmpx_eq_u32_e32 1, v4
	s_cbranch_execz .LBB9_130
; %bb.129:
	v_mov_b32_e32 v8, 1
	s_waitcnt lgkmcnt(0)
	v_mov_b32_e32 v7, v2
	v_mov_b32_e32 v3, v1
.LBB9_130:
	s_or_b32 exec_lo, exec_lo, s9
	v_mov_b32_e32 v9, v8
.LBB9_131:
	s_or_b32 exec_lo, exec_lo, s8
	v_and_b32_e32 v4, 0xff, v9
	s_waitcnt lgkmcnt(1)
	v_mov_b32_e32 v11, v3
	s_waitcnt lgkmcnt(0)
	v_mov_b32_e32 v12, v7
	v_mov_b32_e32 v2, v7
	v_mov_b32_e32 v1, v3
.LBB9_132:
	s_or_b32 exec_lo, exec_lo, s7
	v_or_b32_e32 v6, 16, v6
	v_add_nc_u32_e32 v5, 4, v5
	s_waitcnt lgkmcnt(0)
	ds_bpermute_b32 v7, v6, v4
	ds_bpermute_b32 v3, v6, v11
	;; [unrolled: 1-line block ×3, first 2 shown]
	v_cmp_gt_u32_e32 vcc_lo, s2, v5
	s_and_saveexec_b32 s2, vcc_lo
	s_cbranch_execz .LBB9_140
; %bb.133:
	s_waitcnt lgkmcnt(2)
	v_and_b32_e32 v5, v4, v7
	s_mov_b32 s7, exec_lo
	v_and_b32_e32 v5, 1, v5
	v_cmpx_eq_u32_e32 1, v5
	s_xor_b32 s7, exec_lo, s7
	s_cbranch_execz .LBB9_135
; %bb.134:
	s_waitcnt lgkmcnt(1)
	v_cmp_gt_f32_e32 vcc_lo, v1, v3
                                        ; implicit-def: $vgpr7
                                        ; implicit-def: $vgpr4
	v_cndmask_b32_e32 v3, v1, v3, vcc_lo
	s_waitcnt lgkmcnt(0)
	v_cmp_lt_f32_e32 vcc_lo, v2, v6
	v_cndmask_b32_e32 v6, v2, v6, vcc_lo
                                        ; implicit-def: $vgpr2
.LBB9_135:
	s_or_saveexec_b32 s7, s7
	v_mov_b32_e32 v5, 1
	s_xor_b32 exec_lo, exec_lo, s7
	s_cbranch_execz .LBB9_139
; %bb.136:
	v_and_b32_e32 v4, 1, v4
	s_mov_b32 s8, exec_lo
	v_cmpx_eq_u32_e32 1, v4
	s_cbranch_execz .LBB9_138
; %bb.137:
	v_mov_b32_e32 v7, 1
	s_waitcnt lgkmcnt(0)
	v_mov_b32_e32 v6, v2
	v_mov_b32_e32 v3, v1
.LBB9_138:
	s_or_b32 exec_lo, exec_lo, s8
	v_mov_b32_e32 v5, v7
.LBB9_139:
	s_or_b32 exec_lo, exec_lo, s7
	s_waitcnt lgkmcnt(0)
	v_mov_b32_e32 v2, v6
	v_mov_b32_e32 v1, v3
	;; [unrolled: 1-line block ×3, first 2 shown]
.LBB9_140:
	s_or_b32 exec_lo, exec_lo, s2
.LBB9_141:
	s_or_b32 exec_lo, exec_lo, s3
.LBB9_142:
	s_load_dword s2, s[4:5], 0x30
	s_mov_b32 s3, exec_lo
	v_cmpx_eq_u32_e32 0, v0
	s_cbranch_execz .LBB9_144
; %bb.143:
	s_mul_i32 s3, s18, s17
	s_mul_hi_u32 s4, s18, s16
	s_mul_i32 s5, s19, s16
	s_add_i32 s3, s4, s3
	s_mul_i32 s4, s18, s16
	s_add_i32 s3, s3, s5
	s_mul_hi_u32 s5, s4, 12
	s_mul_i32 s3, s3, 12
	s_mul_i32 s4, s4, 12
	s_add_i32 s5, s5, s3
	s_add_u32 s3, s14, s4
	s_addc_u32 s4, s15, s5
	s_cmp_eq_u64 s[12:13], 0
	s_waitcnt lgkmcnt(0)
	v_mov_b32_e32 v3, 0
	s_cselect_b32 s5, -1, 0
	v_cndmask_b32_e64 v1, v1, s0, s5
	v_cndmask_b32_e64 v0, v4, s2, s5
	s_mul_i32 s0, s6, 12
	v_cndmask_b32_e64 v2, v2, s1, s5
	s_mul_hi_u32 s1, s6, 12
	s_add_u32 s0, s3, s0
	s_addc_u32 s1, s4, s1
	global_store_byte v3, v0, s[0:1]
	global_store_dwordx2 v3, v[1:2], s[0:1] offset:4
.LBB9_144:
	s_endpgm
	.section	.rodata,"a",@progbits
	.p2align	6, 0x0
	.amdhsa_kernel _ZN7rocprim17ROCPRIM_400000_NS6detail17trampoline_kernelINS0_14default_configENS1_22reduce_config_selectorIN6thrust23THRUST_200600_302600_NS5tupleIbffNS6_9null_typeES8_S8_S8_S8_S8_S8_EEEEZNS1_11reduce_implILb1ES3_PS9_SC_S9_12reduce_tupleIifEEE10hipError_tPvRmT1_T2_T3_mT4_P12ihipStream_tbEUlT_E0_NS1_11comp_targetILNS1_3genE8ELNS1_11target_archE1030ELNS1_3gpuE2ELNS1_3repE0EEENS1_30default_config_static_selectorELNS0_4arch9wavefront6targetE0EEEvSI_
		.amdhsa_group_segment_fixed_size 192
		.amdhsa_private_segment_fixed_size 0
		.amdhsa_kernarg_size 64
		.amdhsa_user_sgpr_count 6
		.amdhsa_user_sgpr_private_segment_buffer 1
		.amdhsa_user_sgpr_dispatch_ptr 0
		.amdhsa_user_sgpr_queue_ptr 0
		.amdhsa_user_sgpr_kernarg_segment_ptr 1
		.amdhsa_user_sgpr_dispatch_id 0
		.amdhsa_user_sgpr_flat_scratch_init 0
		.amdhsa_user_sgpr_private_segment_size 0
		.amdhsa_wavefront_size32 1
		.amdhsa_uses_dynamic_stack 0
		.amdhsa_system_sgpr_private_segment_wavefront_offset 0
		.amdhsa_system_sgpr_workgroup_id_x 1
		.amdhsa_system_sgpr_workgroup_id_y 0
		.amdhsa_system_sgpr_workgroup_id_z 0
		.amdhsa_system_sgpr_workgroup_info 0
		.amdhsa_system_vgpr_workitem_id 0
		.amdhsa_next_free_vgpr 13
		.amdhsa_next_free_sgpr 20
		.amdhsa_reserve_vcc 1
		.amdhsa_reserve_flat_scratch 0
		.amdhsa_float_round_mode_32 0
		.amdhsa_float_round_mode_16_64 0
		.amdhsa_float_denorm_mode_32 3
		.amdhsa_float_denorm_mode_16_64 3
		.amdhsa_dx10_clamp 1
		.amdhsa_ieee_mode 1
		.amdhsa_fp16_overflow 0
		.amdhsa_workgroup_processor_mode 1
		.amdhsa_memory_ordered 1
		.amdhsa_forward_progress 1
		.amdhsa_shared_vgpr_count 0
		.amdhsa_exception_fp_ieee_invalid_op 0
		.amdhsa_exception_fp_denorm_src 0
		.amdhsa_exception_fp_ieee_div_zero 0
		.amdhsa_exception_fp_ieee_overflow 0
		.amdhsa_exception_fp_ieee_underflow 0
		.amdhsa_exception_fp_ieee_inexact 0
		.amdhsa_exception_int_div_zero 0
	.end_amdhsa_kernel
	.section	.text._ZN7rocprim17ROCPRIM_400000_NS6detail17trampoline_kernelINS0_14default_configENS1_22reduce_config_selectorIN6thrust23THRUST_200600_302600_NS5tupleIbffNS6_9null_typeES8_S8_S8_S8_S8_S8_EEEEZNS1_11reduce_implILb1ES3_PS9_SC_S9_12reduce_tupleIifEEE10hipError_tPvRmT1_T2_T3_mT4_P12ihipStream_tbEUlT_E0_NS1_11comp_targetILNS1_3genE8ELNS1_11target_archE1030ELNS1_3gpuE2ELNS1_3repE0EEENS1_30default_config_static_selectorELNS0_4arch9wavefront6targetE0EEEvSI_,"axG",@progbits,_ZN7rocprim17ROCPRIM_400000_NS6detail17trampoline_kernelINS0_14default_configENS1_22reduce_config_selectorIN6thrust23THRUST_200600_302600_NS5tupleIbffNS6_9null_typeES8_S8_S8_S8_S8_S8_EEEEZNS1_11reduce_implILb1ES3_PS9_SC_S9_12reduce_tupleIifEEE10hipError_tPvRmT1_T2_T3_mT4_P12ihipStream_tbEUlT_E0_NS1_11comp_targetILNS1_3genE8ELNS1_11target_archE1030ELNS1_3gpuE2ELNS1_3repE0EEENS1_30default_config_static_selectorELNS0_4arch9wavefront6targetE0EEEvSI_,comdat
.Lfunc_end9:
	.size	_ZN7rocprim17ROCPRIM_400000_NS6detail17trampoline_kernelINS0_14default_configENS1_22reduce_config_selectorIN6thrust23THRUST_200600_302600_NS5tupleIbffNS6_9null_typeES8_S8_S8_S8_S8_S8_EEEEZNS1_11reduce_implILb1ES3_PS9_SC_S9_12reduce_tupleIifEEE10hipError_tPvRmT1_T2_T3_mT4_P12ihipStream_tbEUlT_E0_NS1_11comp_targetILNS1_3genE8ELNS1_11target_archE1030ELNS1_3gpuE2ELNS1_3repE0EEENS1_30default_config_static_selectorELNS0_4arch9wavefront6targetE0EEEvSI_, .Lfunc_end9-_ZN7rocprim17ROCPRIM_400000_NS6detail17trampoline_kernelINS0_14default_configENS1_22reduce_config_selectorIN6thrust23THRUST_200600_302600_NS5tupleIbffNS6_9null_typeES8_S8_S8_S8_S8_S8_EEEEZNS1_11reduce_implILb1ES3_PS9_SC_S9_12reduce_tupleIifEEE10hipError_tPvRmT1_T2_T3_mT4_P12ihipStream_tbEUlT_E0_NS1_11comp_targetILNS1_3genE8ELNS1_11target_archE1030ELNS1_3gpuE2ELNS1_3repE0EEENS1_30default_config_static_selectorELNS0_4arch9wavefront6targetE0EEEvSI_
                                        ; -- End function
	.set _ZN7rocprim17ROCPRIM_400000_NS6detail17trampoline_kernelINS0_14default_configENS1_22reduce_config_selectorIN6thrust23THRUST_200600_302600_NS5tupleIbffNS6_9null_typeES8_S8_S8_S8_S8_S8_EEEEZNS1_11reduce_implILb1ES3_PS9_SC_S9_12reduce_tupleIifEEE10hipError_tPvRmT1_T2_T3_mT4_P12ihipStream_tbEUlT_E0_NS1_11comp_targetILNS1_3genE8ELNS1_11target_archE1030ELNS1_3gpuE2ELNS1_3repE0EEENS1_30default_config_static_selectorELNS0_4arch9wavefront6targetE0EEEvSI_.num_vgpr, 13
	.set _ZN7rocprim17ROCPRIM_400000_NS6detail17trampoline_kernelINS0_14default_configENS1_22reduce_config_selectorIN6thrust23THRUST_200600_302600_NS5tupleIbffNS6_9null_typeES8_S8_S8_S8_S8_S8_EEEEZNS1_11reduce_implILb1ES3_PS9_SC_S9_12reduce_tupleIifEEE10hipError_tPvRmT1_T2_T3_mT4_P12ihipStream_tbEUlT_E0_NS1_11comp_targetILNS1_3genE8ELNS1_11target_archE1030ELNS1_3gpuE2ELNS1_3repE0EEENS1_30default_config_static_selectorELNS0_4arch9wavefront6targetE0EEEvSI_.num_agpr, 0
	.set _ZN7rocprim17ROCPRIM_400000_NS6detail17trampoline_kernelINS0_14default_configENS1_22reduce_config_selectorIN6thrust23THRUST_200600_302600_NS5tupleIbffNS6_9null_typeES8_S8_S8_S8_S8_S8_EEEEZNS1_11reduce_implILb1ES3_PS9_SC_S9_12reduce_tupleIifEEE10hipError_tPvRmT1_T2_T3_mT4_P12ihipStream_tbEUlT_E0_NS1_11comp_targetILNS1_3genE8ELNS1_11target_archE1030ELNS1_3gpuE2ELNS1_3repE0EEENS1_30default_config_static_selectorELNS0_4arch9wavefront6targetE0EEEvSI_.numbered_sgpr, 20
	.set _ZN7rocprim17ROCPRIM_400000_NS6detail17trampoline_kernelINS0_14default_configENS1_22reduce_config_selectorIN6thrust23THRUST_200600_302600_NS5tupleIbffNS6_9null_typeES8_S8_S8_S8_S8_S8_EEEEZNS1_11reduce_implILb1ES3_PS9_SC_S9_12reduce_tupleIifEEE10hipError_tPvRmT1_T2_T3_mT4_P12ihipStream_tbEUlT_E0_NS1_11comp_targetILNS1_3genE8ELNS1_11target_archE1030ELNS1_3gpuE2ELNS1_3repE0EEENS1_30default_config_static_selectorELNS0_4arch9wavefront6targetE0EEEvSI_.num_named_barrier, 0
	.set _ZN7rocprim17ROCPRIM_400000_NS6detail17trampoline_kernelINS0_14default_configENS1_22reduce_config_selectorIN6thrust23THRUST_200600_302600_NS5tupleIbffNS6_9null_typeES8_S8_S8_S8_S8_S8_EEEEZNS1_11reduce_implILb1ES3_PS9_SC_S9_12reduce_tupleIifEEE10hipError_tPvRmT1_T2_T3_mT4_P12ihipStream_tbEUlT_E0_NS1_11comp_targetILNS1_3genE8ELNS1_11target_archE1030ELNS1_3gpuE2ELNS1_3repE0EEENS1_30default_config_static_selectorELNS0_4arch9wavefront6targetE0EEEvSI_.private_seg_size, 0
	.set _ZN7rocprim17ROCPRIM_400000_NS6detail17trampoline_kernelINS0_14default_configENS1_22reduce_config_selectorIN6thrust23THRUST_200600_302600_NS5tupleIbffNS6_9null_typeES8_S8_S8_S8_S8_S8_EEEEZNS1_11reduce_implILb1ES3_PS9_SC_S9_12reduce_tupleIifEEE10hipError_tPvRmT1_T2_T3_mT4_P12ihipStream_tbEUlT_E0_NS1_11comp_targetILNS1_3genE8ELNS1_11target_archE1030ELNS1_3gpuE2ELNS1_3repE0EEENS1_30default_config_static_selectorELNS0_4arch9wavefront6targetE0EEEvSI_.uses_vcc, 1
	.set _ZN7rocprim17ROCPRIM_400000_NS6detail17trampoline_kernelINS0_14default_configENS1_22reduce_config_selectorIN6thrust23THRUST_200600_302600_NS5tupleIbffNS6_9null_typeES8_S8_S8_S8_S8_S8_EEEEZNS1_11reduce_implILb1ES3_PS9_SC_S9_12reduce_tupleIifEEE10hipError_tPvRmT1_T2_T3_mT4_P12ihipStream_tbEUlT_E0_NS1_11comp_targetILNS1_3genE8ELNS1_11target_archE1030ELNS1_3gpuE2ELNS1_3repE0EEENS1_30default_config_static_selectorELNS0_4arch9wavefront6targetE0EEEvSI_.uses_flat_scratch, 0
	.set _ZN7rocprim17ROCPRIM_400000_NS6detail17trampoline_kernelINS0_14default_configENS1_22reduce_config_selectorIN6thrust23THRUST_200600_302600_NS5tupleIbffNS6_9null_typeES8_S8_S8_S8_S8_S8_EEEEZNS1_11reduce_implILb1ES3_PS9_SC_S9_12reduce_tupleIifEEE10hipError_tPvRmT1_T2_T3_mT4_P12ihipStream_tbEUlT_E0_NS1_11comp_targetILNS1_3genE8ELNS1_11target_archE1030ELNS1_3gpuE2ELNS1_3repE0EEENS1_30default_config_static_selectorELNS0_4arch9wavefront6targetE0EEEvSI_.has_dyn_sized_stack, 0
	.set _ZN7rocprim17ROCPRIM_400000_NS6detail17trampoline_kernelINS0_14default_configENS1_22reduce_config_selectorIN6thrust23THRUST_200600_302600_NS5tupleIbffNS6_9null_typeES8_S8_S8_S8_S8_S8_EEEEZNS1_11reduce_implILb1ES3_PS9_SC_S9_12reduce_tupleIifEEE10hipError_tPvRmT1_T2_T3_mT4_P12ihipStream_tbEUlT_E0_NS1_11comp_targetILNS1_3genE8ELNS1_11target_archE1030ELNS1_3gpuE2ELNS1_3repE0EEENS1_30default_config_static_selectorELNS0_4arch9wavefront6targetE0EEEvSI_.has_recursion, 0
	.set _ZN7rocprim17ROCPRIM_400000_NS6detail17trampoline_kernelINS0_14default_configENS1_22reduce_config_selectorIN6thrust23THRUST_200600_302600_NS5tupleIbffNS6_9null_typeES8_S8_S8_S8_S8_S8_EEEEZNS1_11reduce_implILb1ES3_PS9_SC_S9_12reduce_tupleIifEEE10hipError_tPvRmT1_T2_T3_mT4_P12ihipStream_tbEUlT_E0_NS1_11comp_targetILNS1_3genE8ELNS1_11target_archE1030ELNS1_3gpuE2ELNS1_3repE0EEENS1_30default_config_static_selectorELNS0_4arch9wavefront6targetE0EEEvSI_.has_indirect_call, 0
	.section	.AMDGPU.csdata,"",@progbits
; Kernel info:
; codeLenInByte = 3740
; TotalNumSgprs: 22
; NumVgprs: 13
; ScratchSize: 0
; MemoryBound: 0
; FloatMode: 240
; IeeeMode: 1
; LDSByteSize: 192 bytes/workgroup (compile time only)
; SGPRBlocks: 0
; VGPRBlocks: 1
; NumSGPRsForWavesPerEU: 22
; NumVGPRsForWavesPerEU: 13
; Occupancy: 16
; WaveLimiterHint : 1
; COMPUTE_PGM_RSRC2:SCRATCH_EN: 0
; COMPUTE_PGM_RSRC2:USER_SGPR: 6
; COMPUTE_PGM_RSRC2:TRAP_HANDLER: 0
; COMPUTE_PGM_RSRC2:TGID_X_EN: 1
; COMPUTE_PGM_RSRC2:TGID_Y_EN: 0
; COMPUTE_PGM_RSRC2:TGID_Z_EN: 0
; COMPUTE_PGM_RSRC2:TIDIG_COMP_CNT: 0
	.section	.text._ZN7rocprim17ROCPRIM_400000_NS6detail17trampoline_kernelINS0_14default_configENS1_22reduce_config_selectorIN6thrust23THRUST_200600_302600_NS5tupleIbffNS6_9null_typeES8_S8_S8_S8_S8_S8_EEEEZNS1_11reduce_implILb1ES3_PS9_SC_S9_12reduce_tupleIifEEE10hipError_tPvRmT1_T2_T3_mT4_P12ihipStream_tbEUlT_E1_NS1_11comp_targetILNS1_3genE0ELNS1_11target_archE4294967295ELNS1_3gpuE0ELNS1_3repE0EEENS1_30default_config_static_selectorELNS0_4arch9wavefront6targetE0EEEvSI_,"axG",@progbits,_ZN7rocprim17ROCPRIM_400000_NS6detail17trampoline_kernelINS0_14default_configENS1_22reduce_config_selectorIN6thrust23THRUST_200600_302600_NS5tupleIbffNS6_9null_typeES8_S8_S8_S8_S8_S8_EEEEZNS1_11reduce_implILb1ES3_PS9_SC_S9_12reduce_tupleIifEEE10hipError_tPvRmT1_T2_T3_mT4_P12ihipStream_tbEUlT_E1_NS1_11comp_targetILNS1_3genE0ELNS1_11target_archE4294967295ELNS1_3gpuE0ELNS1_3repE0EEENS1_30default_config_static_selectorELNS0_4arch9wavefront6targetE0EEEvSI_,comdat
	.protected	_ZN7rocprim17ROCPRIM_400000_NS6detail17trampoline_kernelINS0_14default_configENS1_22reduce_config_selectorIN6thrust23THRUST_200600_302600_NS5tupleIbffNS6_9null_typeES8_S8_S8_S8_S8_S8_EEEEZNS1_11reduce_implILb1ES3_PS9_SC_S9_12reduce_tupleIifEEE10hipError_tPvRmT1_T2_T3_mT4_P12ihipStream_tbEUlT_E1_NS1_11comp_targetILNS1_3genE0ELNS1_11target_archE4294967295ELNS1_3gpuE0ELNS1_3repE0EEENS1_30default_config_static_selectorELNS0_4arch9wavefront6targetE0EEEvSI_ ; -- Begin function _ZN7rocprim17ROCPRIM_400000_NS6detail17trampoline_kernelINS0_14default_configENS1_22reduce_config_selectorIN6thrust23THRUST_200600_302600_NS5tupleIbffNS6_9null_typeES8_S8_S8_S8_S8_S8_EEEEZNS1_11reduce_implILb1ES3_PS9_SC_S9_12reduce_tupleIifEEE10hipError_tPvRmT1_T2_T3_mT4_P12ihipStream_tbEUlT_E1_NS1_11comp_targetILNS1_3genE0ELNS1_11target_archE4294967295ELNS1_3gpuE0ELNS1_3repE0EEENS1_30default_config_static_selectorELNS0_4arch9wavefront6targetE0EEEvSI_
	.globl	_ZN7rocprim17ROCPRIM_400000_NS6detail17trampoline_kernelINS0_14default_configENS1_22reduce_config_selectorIN6thrust23THRUST_200600_302600_NS5tupleIbffNS6_9null_typeES8_S8_S8_S8_S8_S8_EEEEZNS1_11reduce_implILb1ES3_PS9_SC_S9_12reduce_tupleIifEEE10hipError_tPvRmT1_T2_T3_mT4_P12ihipStream_tbEUlT_E1_NS1_11comp_targetILNS1_3genE0ELNS1_11target_archE4294967295ELNS1_3gpuE0ELNS1_3repE0EEENS1_30default_config_static_selectorELNS0_4arch9wavefront6targetE0EEEvSI_
	.p2align	8
	.type	_ZN7rocprim17ROCPRIM_400000_NS6detail17trampoline_kernelINS0_14default_configENS1_22reduce_config_selectorIN6thrust23THRUST_200600_302600_NS5tupleIbffNS6_9null_typeES8_S8_S8_S8_S8_S8_EEEEZNS1_11reduce_implILb1ES3_PS9_SC_S9_12reduce_tupleIifEEE10hipError_tPvRmT1_T2_T3_mT4_P12ihipStream_tbEUlT_E1_NS1_11comp_targetILNS1_3genE0ELNS1_11target_archE4294967295ELNS1_3gpuE0ELNS1_3repE0EEENS1_30default_config_static_selectorELNS0_4arch9wavefront6targetE0EEEvSI_,@function
_ZN7rocprim17ROCPRIM_400000_NS6detail17trampoline_kernelINS0_14default_configENS1_22reduce_config_selectorIN6thrust23THRUST_200600_302600_NS5tupleIbffNS6_9null_typeES8_S8_S8_S8_S8_S8_EEEEZNS1_11reduce_implILb1ES3_PS9_SC_S9_12reduce_tupleIifEEE10hipError_tPvRmT1_T2_T3_mT4_P12ihipStream_tbEUlT_E1_NS1_11comp_targetILNS1_3genE0ELNS1_11target_archE4294967295ELNS1_3gpuE0ELNS1_3repE0EEENS1_30default_config_static_selectorELNS0_4arch9wavefront6targetE0EEEvSI_: ; @_ZN7rocprim17ROCPRIM_400000_NS6detail17trampoline_kernelINS0_14default_configENS1_22reduce_config_selectorIN6thrust23THRUST_200600_302600_NS5tupleIbffNS6_9null_typeES8_S8_S8_S8_S8_S8_EEEEZNS1_11reduce_implILb1ES3_PS9_SC_S9_12reduce_tupleIifEEE10hipError_tPvRmT1_T2_T3_mT4_P12ihipStream_tbEUlT_E1_NS1_11comp_targetILNS1_3genE0ELNS1_11target_archE4294967295ELNS1_3gpuE0ELNS1_3repE0EEENS1_30default_config_static_selectorELNS0_4arch9wavefront6targetE0EEEvSI_
; %bb.0:
	.section	.rodata,"a",@progbits
	.p2align	6, 0x0
	.amdhsa_kernel _ZN7rocprim17ROCPRIM_400000_NS6detail17trampoline_kernelINS0_14default_configENS1_22reduce_config_selectorIN6thrust23THRUST_200600_302600_NS5tupleIbffNS6_9null_typeES8_S8_S8_S8_S8_S8_EEEEZNS1_11reduce_implILb1ES3_PS9_SC_S9_12reduce_tupleIifEEE10hipError_tPvRmT1_T2_T3_mT4_P12ihipStream_tbEUlT_E1_NS1_11comp_targetILNS1_3genE0ELNS1_11target_archE4294967295ELNS1_3gpuE0ELNS1_3repE0EEENS1_30default_config_static_selectorELNS0_4arch9wavefront6targetE0EEEvSI_
		.amdhsa_group_segment_fixed_size 0
		.amdhsa_private_segment_fixed_size 0
		.amdhsa_kernarg_size 48
		.amdhsa_user_sgpr_count 6
		.amdhsa_user_sgpr_private_segment_buffer 1
		.amdhsa_user_sgpr_dispatch_ptr 0
		.amdhsa_user_sgpr_queue_ptr 0
		.amdhsa_user_sgpr_kernarg_segment_ptr 1
		.amdhsa_user_sgpr_dispatch_id 0
		.amdhsa_user_sgpr_flat_scratch_init 0
		.amdhsa_user_sgpr_private_segment_size 0
		.amdhsa_wavefront_size32 1
		.amdhsa_uses_dynamic_stack 0
		.amdhsa_system_sgpr_private_segment_wavefront_offset 0
		.amdhsa_system_sgpr_workgroup_id_x 1
		.amdhsa_system_sgpr_workgroup_id_y 0
		.amdhsa_system_sgpr_workgroup_id_z 0
		.amdhsa_system_sgpr_workgroup_info 0
		.amdhsa_system_vgpr_workitem_id 0
		.amdhsa_next_free_vgpr 1
		.amdhsa_next_free_sgpr 1
		.amdhsa_reserve_vcc 0
		.amdhsa_reserve_flat_scratch 0
		.amdhsa_float_round_mode_32 0
		.amdhsa_float_round_mode_16_64 0
		.amdhsa_float_denorm_mode_32 3
		.amdhsa_float_denorm_mode_16_64 3
		.amdhsa_dx10_clamp 1
		.amdhsa_ieee_mode 1
		.amdhsa_fp16_overflow 0
		.amdhsa_workgroup_processor_mode 1
		.amdhsa_memory_ordered 1
		.amdhsa_forward_progress 1
		.amdhsa_shared_vgpr_count 0
		.amdhsa_exception_fp_ieee_invalid_op 0
		.amdhsa_exception_fp_denorm_src 0
		.amdhsa_exception_fp_ieee_div_zero 0
		.amdhsa_exception_fp_ieee_overflow 0
		.amdhsa_exception_fp_ieee_underflow 0
		.amdhsa_exception_fp_ieee_inexact 0
		.amdhsa_exception_int_div_zero 0
	.end_amdhsa_kernel
	.section	.text._ZN7rocprim17ROCPRIM_400000_NS6detail17trampoline_kernelINS0_14default_configENS1_22reduce_config_selectorIN6thrust23THRUST_200600_302600_NS5tupleIbffNS6_9null_typeES8_S8_S8_S8_S8_S8_EEEEZNS1_11reduce_implILb1ES3_PS9_SC_S9_12reduce_tupleIifEEE10hipError_tPvRmT1_T2_T3_mT4_P12ihipStream_tbEUlT_E1_NS1_11comp_targetILNS1_3genE0ELNS1_11target_archE4294967295ELNS1_3gpuE0ELNS1_3repE0EEENS1_30default_config_static_selectorELNS0_4arch9wavefront6targetE0EEEvSI_,"axG",@progbits,_ZN7rocprim17ROCPRIM_400000_NS6detail17trampoline_kernelINS0_14default_configENS1_22reduce_config_selectorIN6thrust23THRUST_200600_302600_NS5tupleIbffNS6_9null_typeES8_S8_S8_S8_S8_S8_EEEEZNS1_11reduce_implILb1ES3_PS9_SC_S9_12reduce_tupleIifEEE10hipError_tPvRmT1_T2_T3_mT4_P12ihipStream_tbEUlT_E1_NS1_11comp_targetILNS1_3genE0ELNS1_11target_archE4294967295ELNS1_3gpuE0ELNS1_3repE0EEENS1_30default_config_static_selectorELNS0_4arch9wavefront6targetE0EEEvSI_,comdat
.Lfunc_end10:
	.size	_ZN7rocprim17ROCPRIM_400000_NS6detail17trampoline_kernelINS0_14default_configENS1_22reduce_config_selectorIN6thrust23THRUST_200600_302600_NS5tupleIbffNS6_9null_typeES8_S8_S8_S8_S8_S8_EEEEZNS1_11reduce_implILb1ES3_PS9_SC_S9_12reduce_tupleIifEEE10hipError_tPvRmT1_T2_T3_mT4_P12ihipStream_tbEUlT_E1_NS1_11comp_targetILNS1_3genE0ELNS1_11target_archE4294967295ELNS1_3gpuE0ELNS1_3repE0EEENS1_30default_config_static_selectorELNS0_4arch9wavefront6targetE0EEEvSI_, .Lfunc_end10-_ZN7rocprim17ROCPRIM_400000_NS6detail17trampoline_kernelINS0_14default_configENS1_22reduce_config_selectorIN6thrust23THRUST_200600_302600_NS5tupleIbffNS6_9null_typeES8_S8_S8_S8_S8_S8_EEEEZNS1_11reduce_implILb1ES3_PS9_SC_S9_12reduce_tupleIifEEE10hipError_tPvRmT1_T2_T3_mT4_P12ihipStream_tbEUlT_E1_NS1_11comp_targetILNS1_3genE0ELNS1_11target_archE4294967295ELNS1_3gpuE0ELNS1_3repE0EEENS1_30default_config_static_selectorELNS0_4arch9wavefront6targetE0EEEvSI_
                                        ; -- End function
	.set _ZN7rocprim17ROCPRIM_400000_NS6detail17trampoline_kernelINS0_14default_configENS1_22reduce_config_selectorIN6thrust23THRUST_200600_302600_NS5tupleIbffNS6_9null_typeES8_S8_S8_S8_S8_S8_EEEEZNS1_11reduce_implILb1ES3_PS9_SC_S9_12reduce_tupleIifEEE10hipError_tPvRmT1_T2_T3_mT4_P12ihipStream_tbEUlT_E1_NS1_11comp_targetILNS1_3genE0ELNS1_11target_archE4294967295ELNS1_3gpuE0ELNS1_3repE0EEENS1_30default_config_static_selectorELNS0_4arch9wavefront6targetE0EEEvSI_.num_vgpr, 0
	.set _ZN7rocprim17ROCPRIM_400000_NS6detail17trampoline_kernelINS0_14default_configENS1_22reduce_config_selectorIN6thrust23THRUST_200600_302600_NS5tupleIbffNS6_9null_typeES8_S8_S8_S8_S8_S8_EEEEZNS1_11reduce_implILb1ES3_PS9_SC_S9_12reduce_tupleIifEEE10hipError_tPvRmT1_T2_T3_mT4_P12ihipStream_tbEUlT_E1_NS1_11comp_targetILNS1_3genE0ELNS1_11target_archE4294967295ELNS1_3gpuE0ELNS1_3repE0EEENS1_30default_config_static_selectorELNS0_4arch9wavefront6targetE0EEEvSI_.num_agpr, 0
	.set _ZN7rocprim17ROCPRIM_400000_NS6detail17trampoline_kernelINS0_14default_configENS1_22reduce_config_selectorIN6thrust23THRUST_200600_302600_NS5tupleIbffNS6_9null_typeES8_S8_S8_S8_S8_S8_EEEEZNS1_11reduce_implILb1ES3_PS9_SC_S9_12reduce_tupleIifEEE10hipError_tPvRmT1_T2_T3_mT4_P12ihipStream_tbEUlT_E1_NS1_11comp_targetILNS1_3genE0ELNS1_11target_archE4294967295ELNS1_3gpuE0ELNS1_3repE0EEENS1_30default_config_static_selectorELNS0_4arch9wavefront6targetE0EEEvSI_.numbered_sgpr, 0
	.set _ZN7rocprim17ROCPRIM_400000_NS6detail17trampoline_kernelINS0_14default_configENS1_22reduce_config_selectorIN6thrust23THRUST_200600_302600_NS5tupleIbffNS6_9null_typeES8_S8_S8_S8_S8_S8_EEEEZNS1_11reduce_implILb1ES3_PS9_SC_S9_12reduce_tupleIifEEE10hipError_tPvRmT1_T2_T3_mT4_P12ihipStream_tbEUlT_E1_NS1_11comp_targetILNS1_3genE0ELNS1_11target_archE4294967295ELNS1_3gpuE0ELNS1_3repE0EEENS1_30default_config_static_selectorELNS0_4arch9wavefront6targetE0EEEvSI_.num_named_barrier, 0
	.set _ZN7rocprim17ROCPRIM_400000_NS6detail17trampoline_kernelINS0_14default_configENS1_22reduce_config_selectorIN6thrust23THRUST_200600_302600_NS5tupleIbffNS6_9null_typeES8_S8_S8_S8_S8_S8_EEEEZNS1_11reduce_implILb1ES3_PS9_SC_S9_12reduce_tupleIifEEE10hipError_tPvRmT1_T2_T3_mT4_P12ihipStream_tbEUlT_E1_NS1_11comp_targetILNS1_3genE0ELNS1_11target_archE4294967295ELNS1_3gpuE0ELNS1_3repE0EEENS1_30default_config_static_selectorELNS0_4arch9wavefront6targetE0EEEvSI_.private_seg_size, 0
	.set _ZN7rocprim17ROCPRIM_400000_NS6detail17trampoline_kernelINS0_14default_configENS1_22reduce_config_selectorIN6thrust23THRUST_200600_302600_NS5tupleIbffNS6_9null_typeES8_S8_S8_S8_S8_S8_EEEEZNS1_11reduce_implILb1ES3_PS9_SC_S9_12reduce_tupleIifEEE10hipError_tPvRmT1_T2_T3_mT4_P12ihipStream_tbEUlT_E1_NS1_11comp_targetILNS1_3genE0ELNS1_11target_archE4294967295ELNS1_3gpuE0ELNS1_3repE0EEENS1_30default_config_static_selectorELNS0_4arch9wavefront6targetE0EEEvSI_.uses_vcc, 0
	.set _ZN7rocprim17ROCPRIM_400000_NS6detail17trampoline_kernelINS0_14default_configENS1_22reduce_config_selectorIN6thrust23THRUST_200600_302600_NS5tupleIbffNS6_9null_typeES8_S8_S8_S8_S8_S8_EEEEZNS1_11reduce_implILb1ES3_PS9_SC_S9_12reduce_tupleIifEEE10hipError_tPvRmT1_T2_T3_mT4_P12ihipStream_tbEUlT_E1_NS1_11comp_targetILNS1_3genE0ELNS1_11target_archE4294967295ELNS1_3gpuE0ELNS1_3repE0EEENS1_30default_config_static_selectorELNS0_4arch9wavefront6targetE0EEEvSI_.uses_flat_scratch, 0
	.set _ZN7rocprim17ROCPRIM_400000_NS6detail17trampoline_kernelINS0_14default_configENS1_22reduce_config_selectorIN6thrust23THRUST_200600_302600_NS5tupleIbffNS6_9null_typeES8_S8_S8_S8_S8_S8_EEEEZNS1_11reduce_implILb1ES3_PS9_SC_S9_12reduce_tupleIifEEE10hipError_tPvRmT1_T2_T3_mT4_P12ihipStream_tbEUlT_E1_NS1_11comp_targetILNS1_3genE0ELNS1_11target_archE4294967295ELNS1_3gpuE0ELNS1_3repE0EEENS1_30default_config_static_selectorELNS0_4arch9wavefront6targetE0EEEvSI_.has_dyn_sized_stack, 0
	.set _ZN7rocprim17ROCPRIM_400000_NS6detail17trampoline_kernelINS0_14default_configENS1_22reduce_config_selectorIN6thrust23THRUST_200600_302600_NS5tupleIbffNS6_9null_typeES8_S8_S8_S8_S8_S8_EEEEZNS1_11reduce_implILb1ES3_PS9_SC_S9_12reduce_tupleIifEEE10hipError_tPvRmT1_T2_T3_mT4_P12ihipStream_tbEUlT_E1_NS1_11comp_targetILNS1_3genE0ELNS1_11target_archE4294967295ELNS1_3gpuE0ELNS1_3repE0EEENS1_30default_config_static_selectorELNS0_4arch9wavefront6targetE0EEEvSI_.has_recursion, 0
	.set _ZN7rocprim17ROCPRIM_400000_NS6detail17trampoline_kernelINS0_14default_configENS1_22reduce_config_selectorIN6thrust23THRUST_200600_302600_NS5tupleIbffNS6_9null_typeES8_S8_S8_S8_S8_S8_EEEEZNS1_11reduce_implILb1ES3_PS9_SC_S9_12reduce_tupleIifEEE10hipError_tPvRmT1_T2_T3_mT4_P12ihipStream_tbEUlT_E1_NS1_11comp_targetILNS1_3genE0ELNS1_11target_archE4294967295ELNS1_3gpuE0ELNS1_3repE0EEENS1_30default_config_static_selectorELNS0_4arch9wavefront6targetE0EEEvSI_.has_indirect_call, 0
	.section	.AMDGPU.csdata,"",@progbits
; Kernel info:
; codeLenInByte = 0
; TotalNumSgprs: 0
; NumVgprs: 0
; ScratchSize: 0
; MemoryBound: 0
; FloatMode: 240
; IeeeMode: 1
; LDSByteSize: 0 bytes/workgroup (compile time only)
; SGPRBlocks: 0
; VGPRBlocks: 0
; NumSGPRsForWavesPerEU: 1
; NumVGPRsForWavesPerEU: 1
; Occupancy: 16
; WaveLimiterHint : 0
; COMPUTE_PGM_RSRC2:SCRATCH_EN: 0
; COMPUTE_PGM_RSRC2:USER_SGPR: 6
; COMPUTE_PGM_RSRC2:TRAP_HANDLER: 0
; COMPUTE_PGM_RSRC2:TGID_X_EN: 1
; COMPUTE_PGM_RSRC2:TGID_Y_EN: 0
; COMPUTE_PGM_RSRC2:TGID_Z_EN: 0
; COMPUTE_PGM_RSRC2:TIDIG_COMP_CNT: 0
	.section	.text._ZN7rocprim17ROCPRIM_400000_NS6detail17trampoline_kernelINS0_14default_configENS1_22reduce_config_selectorIN6thrust23THRUST_200600_302600_NS5tupleIbffNS6_9null_typeES8_S8_S8_S8_S8_S8_EEEEZNS1_11reduce_implILb1ES3_PS9_SC_S9_12reduce_tupleIifEEE10hipError_tPvRmT1_T2_T3_mT4_P12ihipStream_tbEUlT_E1_NS1_11comp_targetILNS1_3genE5ELNS1_11target_archE942ELNS1_3gpuE9ELNS1_3repE0EEENS1_30default_config_static_selectorELNS0_4arch9wavefront6targetE0EEEvSI_,"axG",@progbits,_ZN7rocprim17ROCPRIM_400000_NS6detail17trampoline_kernelINS0_14default_configENS1_22reduce_config_selectorIN6thrust23THRUST_200600_302600_NS5tupleIbffNS6_9null_typeES8_S8_S8_S8_S8_S8_EEEEZNS1_11reduce_implILb1ES3_PS9_SC_S9_12reduce_tupleIifEEE10hipError_tPvRmT1_T2_T3_mT4_P12ihipStream_tbEUlT_E1_NS1_11comp_targetILNS1_3genE5ELNS1_11target_archE942ELNS1_3gpuE9ELNS1_3repE0EEENS1_30default_config_static_selectorELNS0_4arch9wavefront6targetE0EEEvSI_,comdat
	.protected	_ZN7rocprim17ROCPRIM_400000_NS6detail17trampoline_kernelINS0_14default_configENS1_22reduce_config_selectorIN6thrust23THRUST_200600_302600_NS5tupleIbffNS6_9null_typeES8_S8_S8_S8_S8_S8_EEEEZNS1_11reduce_implILb1ES3_PS9_SC_S9_12reduce_tupleIifEEE10hipError_tPvRmT1_T2_T3_mT4_P12ihipStream_tbEUlT_E1_NS1_11comp_targetILNS1_3genE5ELNS1_11target_archE942ELNS1_3gpuE9ELNS1_3repE0EEENS1_30default_config_static_selectorELNS0_4arch9wavefront6targetE0EEEvSI_ ; -- Begin function _ZN7rocprim17ROCPRIM_400000_NS6detail17trampoline_kernelINS0_14default_configENS1_22reduce_config_selectorIN6thrust23THRUST_200600_302600_NS5tupleIbffNS6_9null_typeES8_S8_S8_S8_S8_S8_EEEEZNS1_11reduce_implILb1ES3_PS9_SC_S9_12reduce_tupleIifEEE10hipError_tPvRmT1_T2_T3_mT4_P12ihipStream_tbEUlT_E1_NS1_11comp_targetILNS1_3genE5ELNS1_11target_archE942ELNS1_3gpuE9ELNS1_3repE0EEENS1_30default_config_static_selectorELNS0_4arch9wavefront6targetE0EEEvSI_
	.globl	_ZN7rocprim17ROCPRIM_400000_NS6detail17trampoline_kernelINS0_14default_configENS1_22reduce_config_selectorIN6thrust23THRUST_200600_302600_NS5tupleIbffNS6_9null_typeES8_S8_S8_S8_S8_S8_EEEEZNS1_11reduce_implILb1ES3_PS9_SC_S9_12reduce_tupleIifEEE10hipError_tPvRmT1_T2_T3_mT4_P12ihipStream_tbEUlT_E1_NS1_11comp_targetILNS1_3genE5ELNS1_11target_archE942ELNS1_3gpuE9ELNS1_3repE0EEENS1_30default_config_static_selectorELNS0_4arch9wavefront6targetE0EEEvSI_
	.p2align	8
	.type	_ZN7rocprim17ROCPRIM_400000_NS6detail17trampoline_kernelINS0_14default_configENS1_22reduce_config_selectorIN6thrust23THRUST_200600_302600_NS5tupleIbffNS6_9null_typeES8_S8_S8_S8_S8_S8_EEEEZNS1_11reduce_implILb1ES3_PS9_SC_S9_12reduce_tupleIifEEE10hipError_tPvRmT1_T2_T3_mT4_P12ihipStream_tbEUlT_E1_NS1_11comp_targetILNS1_3genE5ELNS1_11target_archE942ELNS1_3gpuE9ELNS1_3repE0EEENS1_30default_config_static_selectorELNS0_4arch9wavefront6targetE0EEEvSI_,@function
_ZN7rocprim17ROCPRIM_400000_NS6detail17trampoline_kernelINS0_14default_configENS1_22reduce_config_selectorIN6thrust23THRUST_200600_302600_NS5tupleIbffNS6_9null_typeES8_S8_S8_S8_S8_S8_EEEEZNS1_11reduce_implILb1ES3_PS9_SC_S9_12reduce_tupleIifEEE10hipError_tPvRmT1_T2_T3_mT4_P12ihipStream_tbEUlT_E1_NS1_11comp_targetILNS1_3genE5ELNS1_11target_archE942ELNS1_3gpuE9ELNS1_3repE0EEENS1_30default_config_static_selectorELNS0_4arch9wavefront6targetE0EEEvSI_: ; @_ZN7rocprim17ROCPRIM_400000_NS6detail17trampoline_kernelINS0_14default_configENS1_22reduce_config_selectorIN6thrust23THRUST_200600_302600_NS5tupleIbffNS6_9null_typeES8_S8_S8_S8_S8_S8_EEEEZNS1_11reduce_implILb1ES3_PS9_SC_S9_12reduce_tupleIifEEE10hipError_tPvRmT1_T2_T3_mT4_P12ihipStream_tbEUlT_E1_NS1_11comp_targetILNS1_3genE5ELNS1_11target_archE942ELNS1_3gpuE9ELNS1_3repE0EEENS1_30default_config_static_selectorELNS0_4arch9wavefront6targetE0EEEvSI_
; %bb.0:
	.section	.rodata,"a",@progbits
	.p2align	6, 0x0
	.amdhsa_kernel _ZN7rocprim17ROCPRIM_400000_NS6detail17trampoline_kernelINS0_14default_configENS1_22reduce_config_selectorIN6thrust23THRUST_200600_302600_NS5tupleIbffNS6_9null_typeES8_S8_S8_S8_S8_S8_EEEEZNS1_11reduce_implILb1ES3_PS9_SC_S9_12reduce_tupleIifEEE10hipError_tPvRmT1_T2_T3_mT4_P12ihipStream_tbEUlT_E1_NS1_11comp_targetILNS1_3genE5ELNS1_11target_archE942ELNS1_3gpuE9ELNS1_3repE0EEENS1_30default_config_static_selectorELNS0_4arch9wavefront6targetE0EEEvSI_
		.amdhsa_group_segment_fixed_size 0
		.amdhsa_private_segment_fixed_size 0
		.amdhsa_kernarg_size 48
		.amdhsa_user_sgpr_count 6
		.amdhsa_user_sgpr_private_segment_buffer 1
		.amdhsa_user_sgpr_dispatch_ptr 0
		.amdhsa_user_sgpr_queue_ptr 0
		.amdhsa_user_sgpr_kernarg_segment_ptr 1
		.amdhsa_user_sgpr_dispatch_id 0
		.amdhsa_user_sgpr_flat_scratch_init 0
		.amdhsa_user_sgpr_private_segment_size 0
		.amdhsa_wavefront_size32 1
		.amdhsa_uses_dynamic_stack 0
		.amdhsa_system_sgpr_private_segment_wavefront_offset 0
		.amdhsa_system_sgpr_workgroup_id_x 1
		.amdhsa_system_sgpr_workgroup_id_y 0
		.amdhsa_system_sgpr_workgroup_id_z 0
		.amdhsa_system_sgpr_workgroup_info 0
		.amdhsa_system_vgpr_workitem_id 0
		.amdhsa_next_free_vgpr 1
		.amdhsa_next_free_sgpr 1
		.amdhsa_reserve_vcc 0
		.amdhsa_reserve_flat_scratch 0
		.amdhsa_float_round_mode_32 0
		.amdhsa_float_round_mode_16_64 0
		.amdhsa_float_denorm_mode_32 3
		.amdhsa_float_denorm_mode_16_64 3
		.amdhsa_dx10_clamp 1
		.amdhsa_ieee_mode 1
		.amdhsa_fp16_overflow 0
		.amdhsa_workgroup_processor_mode 1
		.amdhsa_memory_ordered 1
		.amdhsa_forward_progress 1
		.amdhsa_shared_vgpr_count 0
		.amdhsa_exception_fp_ieee_invalid_op 0
		.amdhsa_exception_fp_denorm_src 0
		.amdhsa_exception_fp_ieee_div_zero 0
		.amdhsa_exception_fp_ieee_overflow 0
		.amdhsa_exception_fp_ieee_underflow 0
		.amdhsa_exception_fp_ieee_inexact 0
		.amdhsa_exception_int_div_zero 0
	.end_amdhsa_kernel
	.section	.text._ZN7rocprim17ROCPRIM_400000_NS6detail17trampoline_kernelINS0_14default_configENS1_22reduce_config_selectorIN6thrust23THRUST_200600_302600_NS5tupleIbffNS6_9null_typeES8_S8_S8_S8_S8_S8_EEEEZNS1_11reduce_implILb1ES3_PS9_SC_S9_12reduce_tupleIifEEE10hipError_tPvRmT1_T2_T3_mT4_P12ihipStream_tbEUlT_E1_NS1_11comp_targetILNS1_3genE5ELNS1_11target_archE942ELNS1_3gpuE9ELNS1_3repE0EEENS1_30default_config_static_selectorELNS0_4arch9wavefront6targetE0EEEvSI_,"axG",@progbits,_ZN7rocprim17ROCPRIM_400000_NS6detail17trampoline_kernelINS0_14default_configENS1_22reduce_config_selectorIN6thrust23THRUST_200600_302600_NS5tupleIbffNS6_9null_typeES8_S8_S8_S8_S8_S8_EEEEZNS1_11reduce_implILb1ES3_PS9_SC_S9_12reduce_tupleIifEEE10hipError_tPvRmT1_T2_T3_mT4_P12ihipStream_tbEUlT_E1_NS1_11comp_targetILNS1_3genE5ELNS1_11target_archE942ELNS1_3gpuE9ELNS1_3repE0EEENS1_30default_config_static_selectorELNS0_4arch9wavefront6targetE0EEEvSI_,comdat
.Lfunc_end11:
	.size	_ZN7rocprim17ROCPRIM_400000_NS6detail17trampoline_kernelINS0_14default_configENS1_22reduce_config_selectorIN6thrust23THRUST_200600_302600_NS5tupleIbffNS6_9null_typeES8_S8_S8_S8_S8_S8_EEEEZNS1_11reduce_implILb1ES3_PS9_SC_S9_12reduce_tupleIifEEE10hipError_tPvRmT1_T2_T3_mT4_P12ihipStream_tbEUlT_E1_NS1_11comp_targetILNS1_3genE5ELNS1_11target_archE942ELNS1_3gpuE9ELNS1_3repE0EEENS1_30default_config_static_selectorELNS0_4arch9wavefront6targetE0EEEvSI_, .Lfunc_end11-_ZN7rocprim17ROCPRIM_400000_NS6detail17trampoline_kernelINS0_14default_configENS1_22reduce_config_selectorIN6thrust23THRUST_200600_302600_NS5tupleIbffNS6_9null_typeES8_S8_S8_S8_S8_S8_EEEEZNS1_11reduce_implILb1ES3_PS9_SC_S9_12reduce_tupleIifEEE10hipError_tPvRmT1_T2_T3_mT4_P12ihipStream_tbEUlT_E1_NS1_11comp_targetILNS1_3genE5ELNS1_11target_archE942ELNS1_3gpuE9ELNS1_3repE0EEENS1_30default_config_static_selectorELNS0_4arch9wavefront6targetE0EEEvSI_
                                        ; -- End function
	.set _ZN7rocprim17ROCPRIM_400000_NS6detail17trampoline_kernelINS0_14default_configENS1_22reduce_config_selectorIN6thrust23THRUST_200600_302600_NS5tupleIbffNS6_9null_typeES8_S8_S8_S8_S8_S8_EEEEZNS1_11reduce_implILb1ES3_PS9_SC_S9_12reduce_tupleIifEEE10hipError_tPvRmT1_T2_T3_mT4_P12ihipStream_tbEUlT_E1_NS1_11comp_targetILNS1_3genE5ELNS1_11target_archE942ELNS1_3gpuE9ELNS1_3repE0EEENS1_30default_config_static_selectorELNS0_4arch9wavefront6targetE0EEEvSI_.num_vgpr, 0
	.set _ZN7rocprim17ROCPRIM_400000_NS6detail17trampoline_kernelINS0_14default_configENS1_22reduce_config_selectorIN6thrust23THRUST_200600_302600_NS5tupleIbffNS6_9null_typeES8_S8_S8_S8_S8_S8_EEEEZNS1_11reduce_implILb1ES3_PS9_SC_S9_12reduce_tupleIifEEE10hipError_tPvRmT1_T2_T3_mT4_P12ihipStream_tbEUlT_E1_NS1_11comp_targetILNS1_3genE5ELNS1_11target_archE942ELNS1_3gpuE9ELNS1_3repE0EEENS1_30default_config_static_selectorELNS0_4arch9wavefront6targetE0EEEvSI_.num_agpr, 0
	.set _ZN7rocprim17ROCPRIM_400000_NS6detail17trampoline_kernelINS0_14default_configENS1_22reduce_config_selectorIN6thrust23THRUST_200600_302600_NS5tupleIbffNS6_9null_typeES8_S8_S8_S8_S8_S8_EEEEZNS1_11reduce_implILb1ES3_PS9_SC_S9_12reduce_tupleIifEEE10hipError_tPvRmT1_T2_T3_mT4_P12ihipStream_tbEUlT_E1_NS1_11comp_targetILNS1_3genE5ELNS1_11target_archE942ELNS1_3gpuE9ELNS1_3repE0EEENS1_30default_config_static_selectorELNS0_4arch9wavefront6targetE0EEEvSI_.numbered_sgpr, 0
	.set _ZN7rocprim17ROCPRIM_400000_NS6detail17trampoline_kernelINS0_14default_configENS1_22reduce_config_selectorIN6thrust23THRUST_200600_302600_NS5tupleIbffNS6_9null_typeES8_S8_S8_S8_S8_S8_EEEEZNS1_11reduce_implILb1ES3_PS9_SC_S9_12reduce_tupleIifEEE10hipError_tPvRmT1_T2_T3_mT4_P12ihipStream_tbEUlT_E1_NS1_11comp_targetILNS1_3genE5ELNS1_11target_archE942ELNS1_3gpuE9ELNS1_3repE0EEENS1_30default_config_static_selectorELNS0_4arch9wavefront6targetE0EEEvSI_.num_named_barrier, 0
	.set _ZN7rocprim17ROCPRIM_400000_NS6detail17trampoline_kernelINS0_14default_configENS1_22reduce_config_selectorIN6thrust23THRUST_200600_302600_NS5tupleIbffNS6_9null_typeES8_S8_S8_S8_S8_S8_EEEEZNS1_11reduce_implILb1ES3_PS9_SC_S9_12reduce_tupleIifEEE10hipError_tPvRmT1_T2_T3_mT4_P12ihipStream_tbEUlT_E1_NS1_11comp_targetILNS1_3genE5ELNS1_11target_archE942ELNS1_3gpuE9ELNS1_3repE0EEENS1_30default_config_static_selectorELNS0_4arch9wavefront6targetE0EEEvSI_.private_seg_size, 0
	.set _ZN7rocprim17ROCPRIM_400000_NS6detail17trampoline_kernelINS0_14default_configENS1_22reduce_config_selectorIN6thrust23THRUST_200600_302600_NS5tupleIbffNS6_9null_typeES8_S8_S8_S8_S8_S8_EEEEZNS1_11reduce_implILb1ES3_PS9_SC_S9_12reduce_tupleIifEEE10hipError_tPvRmT1_T2_T3_mT4_P12ihipStream_tbEUlT_E1_NS1_11comp_targetILNS1_3genE5ELNS1_11target_archE942ELNS1_3gpuE9ELNS1_3repE0EEENS1_30default_config_static_selectorELNS0_4arch9wavefront6targetE0EEEvSI_.uses_vcc, 0
	.set _ZN7rocprim17ROCPRIM_400000_NS6detail17trampoline_kernelINS0_14default_configENS1_22reduce_config_selectorIN6thrust23THRUST_200600_302600_NS5tupleIbffNS6_9null_typeES8_S8_S8_S8_S8_S8_EEEEZNS1_11reduce_implILb1ES3_PS9_SC_S9_12reduce_tupleIifEEE10hipError_tPvRmT1_T2_T3_mT4_P12ihipStream_tbEUlT_E1_NS1_11comp_targetILNS1_3genE5ELNS1_11target_archE942ELNS1_3gpuE9ELNS1_3repE0EEENS1_30default_config_static_selectorELNS0_4arch9wavefront6targetE0EEEvSI_.uses_flat_scratch, 0
	.set _ZN7rocprim17ROCPRIM_400000_NS6detail17trampoline_kernelINS0_14default_configENS1_22reduce_config_selectorIN6thrust23THRUST_200600_302600_NS5tupleIbffNS6_9null_typeES8_S8_S8_S8_S8_S8_EEEEZNS1_11reduce_implILb1ES3_PS9_SC_S9_12reduce_tupleIifEEE10hipError_tPvRmT1_T2_T3_mT4_P12ihipStream_tbEUlT_E1_NS1_11comp_targetILNS1_3genE5ELNS1_11target_archE942ELNS1_3gpuE9ELNS1_3repE0EEENS1_30default_config_static_selectorELNS0_4arch9wavefront6targetE0EEEvSI_.has_dyn_sized_stack, 0
	.set _ZN7rocprim17ROCPRIM_400000_NS6detail17trampoline_kernelINS0_14default_configENS1_22reduce_config_selectorIN6thrust23THRUST_200600_302600_NS5tupleIbffNS6_9null_typeES8_S8_S8_S8_S8_S8_EEEEZNS1_11reduce_implILb1ES3_PS9_SC_S9_12reduce_tupleIifEEE10hipError_tPvRmT1_T2_T3_mT4_P12ihipStream_tbEUlT_E1_NS1_11comp_targetILNS1_3genE5ELNS1_11target_archE942ELNS1_3gpuE9ELNS1_3repE0EEENS1_30default_config_static_selectorELNS0_4arch9wavefront6targetE0EEEvSI_.has_recursion, 0
	.set _ZN7rocprim17ROCPRIM_400000_NS6detail17trampoline_kernelINS0_14default_configENS1_22reduce_config_selectorIN6thrust23THRUST_200600_302600_NS5tupleIbffNS6_9null_typeES8_S8_S8_S8_S8_S8_EEEEZNS1_11reduce_implILb1ES3_PS9_SC_S9_12reduce_tupleIifEEE10hipError_tPvRmT1_T2_T3_mT4_P12ihipStream_tbEUlT_E1_NS1_11comp_targetILNS1_3genE5ELNS1_11target_archE942ELNS1_3gpuE9ELNS1_3repE0EEENS1_30default_config_static_selectorELNS0_4arch9wavefront6targetE0EEEvSI_.has_indirect_call, 0
	.section	.AMDGPU.csdata,"",@progbits
; Kernel info:
; codeLenInByte = 0
; TotalNumSgprs: 0
; NumVgprs: 0
; ScratchSize: 0
; MemoryBound: 0
; FloatMode: 240
; IeeeMode: 1
; LDSByteSize: 0 bytes/workgroup (compile time only)
; SGPRBlocks: 0
; VGPRBlocks: 0
; NumSGPRsForWavesPerEU: 1
; NumVGPRsForWavesPerEU: 1
; Occupancy: 16
; WaveLimiterHint : 0
; COMPUTE_PGM_RSRC2:SCRATCH_EN: 0
; COMPUTE_PGM_RSRC2:USER_SGPR: 6
; COMPUTE_PGM_RSRC2:TRAP_HANDLER: 0
; COMPUTE_PGM_RSRC2:TGID_X_EN: 1
; COMPUTE_PGM_RSRC2:TGID_Y_EN: 0
; COMPUTE_PGM_RSRC2:TGID_Z_EN: 0
; COMPUTE_PGM_RSRC2:TIDIG_COMP_CNT: 0
	.section	.text._ZN7rocprim17ROCPRIM_400000_NS6detail17trampoline_kernelINS0_14default_configENS1_22reduce_config_selectorIN6thrust23THRUST_200600_302600_NS5tupleIbffNS6_9null_typeES8_S8_S8_S8_S8_S8_EEEEZNS1_11reduce_implILb1ES3_PS9_SC_S9_12reduce_tupleIifEEE10hipError_tPvRmT1_T2_T3_mT4_P12ihipStream_tbEUlT_E1_NS1_11comp_targetILNS1_3genE4ELNS1_11target_archE910ELNS1_3gpuE8ELNS1_3repE0EEENS1_30default_config_static_selectorELNS0_4arch9wavefront6targetE0EEEvSI_,"axG",@progbits,_ZN7rocprim17ROCPRIM_400000_NS6detail17trampoline_kernelINS0_14default_configENS1_22reduce_config_selectorIN6thrust23THRUST_200600_302600_NS5tupleIbffNS6_9null_typeES8_S8_S8_S8_S8_S8_EEEEZNS1_11reduce_implILb1ES3_PS9_SC_S9_12reduce_tupleIifEEE10hipError_tPvRmT1_T2_T3_mT4_P12ihipStream_tbEUlT_E1_NS1_11comp_targetILNS1_3genE4ELNS1_11target_archE910ELNS1_3gpuE8ELNS1_3repE0EEENS1_30default_config_static_selectorELNS0_4arch9wavefront6targetE0EEEvSI_,comdat
	.protected	_ZN7rocprim17ROCPRIM_400000_NS6detail17trampoline_kernelINS0_14default_configENS1_22reduce_config_selectorIN6thrust23THRUST_200600_302600_NS5tupleIbffNS6_9null_typeES8_S8_S8_S8_S8_S8_EEEEZNS1_11reduce_implILb1ES3_PS9_SC_S9_12reduce_tupleIifEEE10hipError_tPvRmT1_T2_T3_mT4_P12ihipStream_tbEUlT_E1_NS1_11comp_targetILNS1_3genE4ELNS1_11target_archE910ELNS1_3gpuE8ELNS1_3repE0EEENS1_30default_config_static_selectorELNS0_4arch9wavefront6targetE0EEEvSI_ ; -- Begin function _ZN7rocprim17ROCPRIM_400000_NS6detail17trampoline_kernelINS0_14default_configENS1_22reduce_config_selectorIN6thrust23THRUST_200600_302600_NS5tupleIbffNS6_9null_typeES8_S8_S8_S8_S8_S8_EEEEZNS1_11reduce_implILb1ES3_PS9_SC_S9_12reduce_tupleIifEEE10hipError_tPvRmT1_T2_T3_mT4_P12ihipStream_tbEUlT_E1_NS1_11comp_targetILNS1_3genE4ELNS1_11target_archE910ELNS1_3gpuE8ELNS1_3repE0EEENS1_30default_config_static_selectorELNS0_4arch9wavefront6targetE0EEEvSI_
	.globl	_ZN7rocprim17ROCPRIM_400000_NS6detail17trampoline_kernelINS0_14default_configENS1_22reduce_config_selectorIN6thrust23THRUST_200600_302600_NS5tupleIbffNS6_9null_typeES8_S8_S8_S8_S8_S8_EEEEZNS1_11reduce_implILb1ES3_PS9_SC_S9_12reduce_tupleIifEEE10hipError_tPvRmT1_T2_T3_mT4_P12ihipStream_tbEUlT_E1_NS1_11comp_targetILNS1_3genE4ELNS1_11target_archE910ELNS1_3gpuE8ELNS1_3repE0EEENS1_30default_config_static_selectorELNS0_4arch9wavefront6targetE0EEEvSI_
	.p2align	8
	.type	_ZN7rocprim17ROCPRIM_400000_NS6detail17trampoline_kernelINS0_14default_configENS1_22reduce_config_selectorIN6thrust23THRUST_200600_302600_NS5tupleIbffNS6_9null_typeES8_S8_S8_S8_S8_S8_EEEEZNS1_11reduce_implILb1ES3_PS9_SC_S9_12reduce_tupleIifEEE10hipError_tPvRmT1_T2_T3_mT4_P12ihipStream_tbEUlT_E1_NS1_11comp_targetILNS1_3genE4ELNS1_11target_archE910ELNS1_3gpuE8ELNS1_3repE0EEENS1_30default_config_static_selectorELNS0_4arch9wavefront6targetE0EEEvSI_,@function
_ZN7rocprim17ROCPRIM_400000_NS6detail17trampoline_kernelINS0_14default_configENS1_22reduce_config_selectorIN6thrust23THRUST_200600_302600_NS5tupleIbffNS6_9null_typeES8_S8_S8_S8_S8_S8_EEEEZNS1_11reduce_implILb1ES3_PS9_SC_S9_12reduce_tupleIifEEE10hipError_tPvRmT1_T2_T3_mT4_P12ihipStream_tbEUlT_E1_NS1_11comp_targetILNS1_3genE4ELNS1_11target_archE910ELNS1_3gpuE8ELNS1_3repE0EEENS1_30default_config_static_selectorELNS0_4arch9wavefront6targetE0EEEvSI_: ; @_ZN7rocprim17ROCPRIM_400000_NS6detail17trampoline_kernelINS0_14default_configENS1_22reduce_config_selectorIN6thrust23THRUST_200600_302600_NS5tupleIbffNS6_9null_typeES8_S8_S8_S8_S8_S8_EEEEZNS1_11reduce_implILb1ES3_PS9_SC_S9_12reduce_tupleIifEEE10hipError_tPvRmT1_T2_T3_mT4_P12ihipStream_tbEUlT_E1_NS1_11comp_targetILNS1_3genE4ELNS1_11target_archE910ELNS1_3gpuE8ELNS1_3repE0EEENS1_30default_config_static_selectorELNS0_4arch9wavefront6targetE0EEEvSI_
; %bb.0:
	.section	.rodata,"a",@progbits
	.p2align	6, 0x0
	.amdhsa_kernel _ZN7rocprim17ROCPRIM_400000_NS6detail17trampoline_kernelINS0_14default_configENS1_22reduce_config_selectorIN6thrust23THRUST_200600_302600_NS5tupleIbffNS6_9null_typeES8_S8_S8_S8_S8_S8_EEEEZNS1_11reduce_implILb1ES3_PS9_SC_S9_12reduce_tupleIifEEE10hipError_tPvRmT1_T2_T3_mT4_P12ihipStream_tbEUlT_E1_NS1_11comp_targetILNS1_3genE4ELNS1_11target_archE910ELNS1_3gpuE8ELNS1_3repE0EEENS1_30default_config_static_selectorELNS0_4arch9wavefront6targetE0EEEvSI_
		.amdhsa_group_segment_fixed_size 0
		.amdhsa_private_segment_fixed_size 0
		.amdhsa_kernarg_size 48
		.amdhsa_user_sgpr_count 6
		.amdhsa_user_sgpr_private_segment_buffer 1
		.amdhsa_user_sgpr_dispatch_ptr 0
		.amdhsa_user_sgpr_queue_ptr 0
		.amdhsa_user_sgpr_kernarg_segment_ptr 1
		.amdhsa_user_sgpr_dispatch_id 0
		.amdhsa_user_sgpr_flat_scratch_init 0
		.amdhsa_user_sgpr_private_segment_size 0
		.amdhsa_wavefront_size32 1
		.amdhsa_uses_dynamic_stack 0
		.amdhsa_system_sgpr_private_segment_wavefront_offset 0
		.amdhsa_system_sgpr_workgroup_id_x 1
		.amdhsa_system_sgpr_workgroup_id_y 0
		.amdhsa_system_sgpr_workgroup_id_z 0
		.amdhsa_system_sgpr_workgroup_info 0
		.amdhsa_system_vgpr_workitem_id 0
		.amdhsa_next_free_vgpr 1
		.amdhsa_next_free_sgpr 1
		.amdhsa_reserve_vcc 0
		.amdhsa_reserve_flat_scratch 0
		.amdhsa_float_round_mode_32 0
		.amdhsa_float_round_mode_16_64 0
		.amdhsa_float_denorm_mode_32 3
		.amdhsa_float_denorm_mode_16_64 3
		.amdhsa_dx10_clamp 1
		.amdhsa_ieee_mode 1
		.amdhsa_fp16_overflow 0
		.amdhsa_workgroup_processor_mode 1
		.amdhsa_memory_ordered 1
		.amdhsa_forward_progress 1
		.amdhsa_shared_vgpr_count 0
		.amdhsa_exception_fp_ieee_invalid_op 0
		.amdhsa_exception_fp_denorm_src 0
		.amdhsa_exception_fp_ieee_div_zero 0
		.amdhsa_exception_fp_ieee_overflow 0
		.amdhsa_exception_fp_ieee_underflow 0
		.amdhsa_exception_fp_ieee_inexact 0
		.amdhsa_exception_int_div_zero 0
	.end_amdhsa_kernel
	.section	.text._ZN7rocprim17ROCPRIM_400000_NS6detail17trampoline_kernelINS0_14default_configENS1_22reduce_config_selectorIN6thrust23THRUST_200600_302600_NS5tupleIbffNS6_9null_typeES8_S8_S8_S8_S8_S8_EEEEZNS1_11reduce_implILb1ES3_PS9_SC_S9_12reduce_tupleIifEEE10hipError_tPvRmT1_T2_T3_mT4_P12ihipStream_tbEUlT_E1_NS1_11comp_targetILNS1_3genE4ELNS1_11target_archE910ELNS1_3gpuE8ELNS1_3repE0EEENS1_30default_config_static_selectorELNS0_4arch9wavefront6targetE0EEEvSI_,"axG",@progbits,_ZN7rocprim17ROCPRIM_400000_NS6detail17trampoline_kernelINS0_14default_configENS1_22reduce_config_selectorIN6thrust23THRUST_200600_302600_NS5tupleIbffNS6_9null_typeES8_S8_S8_S8_S8_S8_EEEEZNS1_11reduce_implILb1ES3_PS9_SC_S9_12reduce_tupleIifEEE10hipError_tPvRmT1_T2_T3_mT4_P12ihipStream_tbEUlT_E1_NS1_11comp_targetILNS1_3genE4ELNS1_11target_archE910ELNS1_3gpuE8ELNS1_3repE0EEENS1_30default_config_static_selectorELNS0_4arch9wavefront6targetE0EEEvSI_,comdat
.Lfunc_end12:
	.size	_ZN7rocprim17ROCPRIM_400000_NS6detail17trampoline_kernelINS0_14default_configENS1_22reduce_config_selectorIN6thrust23THRUST_200600_302600_NS5tupleIbffNS6_9null_typeES8_S8_S8_S8_S8_S8_EEEEZNS1_11reduce_implILb1ES3_PS9_SC_S9_12reduce_tupleIifEEE10hipError_tPvRmT1_T2_T3_mT4_P12ihipStream_tbEUlT_E1_NS1_11comp_targetILNS1_3genE4ELNS1_11target_archE910ELNS1_3gpuE8ELNS1_3repE0EEENS1_30default_config_static_selectorELNS0_4arch9wavefront6targetE0EEEvSI_, .Lfunc_end12-_ZN7rocprim17ROCPRIM_400000_NS6detail17trampoline_kernelINS0_14default_configENS1_22reduce_config_selectorIN6thrust23THRUST_200600_302600_NS5tupleIbffNS6_9null_typeES8_S8_S8_S8_S8_S8_EEEEZNS1_11reduce_implILb1ES3_PS9_SC_S9_12reduce_tupleIifEEE10hipError_tPvRmT1_T2_T3_mT4_P12ihipStream_tbEUlT_E1_NS1_11comp_targetILNS1_3genE4ELNS1_11target_archE910ELNS1_3gpuE8ELNS1_3repE0EEENS1_30default_config_static_selectorELNS0_4arch9wavefront6targetE0EEEvSI_
                                        ; -- End function
	.set _ZN7rocprim17ROCPRIM_400000_NS6detail17trampoline_kernelINS0_14default_configENS1_22reduce_config_selectorIN6thrust23THRUST_200600_302600_NS5tupleIbffNS6_9null_typeES8_S8_S8_S8_S8_S8_EEEEZNS1_11reduce_implILb1ES3_PS9_SC_S9_12reduce_tupleIifEEE10hipError_tPvRmT1_T2_T3_mT4_P12ihipStream_tbEUlT_E1_NS1_11comp_targetILNS1_3genE4ELNS1_11target_archE910ELNS1_3gpuE8ELNS1_3repE0EEENS1_30default_config_static_selectorELNS0_4arch9wavefront6targetE0EEEvSI_.num_vgpr, 0
	.set _ZN7rocprim17ROCPRIM_400000_NS6detail17trampoline_kernelINS0_14default_configENS1_22reduce_config_selectorIN6thrust23THRUST_200600_302600_NS5tupleIbffNS6_9null_typeES8_S8_S8_S8_S8_S8_EEEEZNS1_11reduce_implILb1ES3_PS9_SC_S9_12reduce_tupleIifEEE10hipError_tPvRmT1_T2_T3_mT4_P12ihipStream_tbEUlT_E1_NS1_11comp_targetILNS1_3genE4ELNS1_11target_archE910ELNS1_3gpuE8ELNS1_3repE0EEENS1_30default_config_static_selectorELNS0_4arch9wavefront6targetE0EEEvSI_.num_agpr, 0
	.set _ZN7rocprim17ROCPRIM_400000_NS6detail17trampoline_kernelINS0_14default_configENS1_22reduce_config_selectorIN6thrust23THRUST_200600_302600_NS5tupleIbffNS6_9null_typeES8_S8_S8_S8_S8_S8_EEEEZNS1_11reduce_implILb1ES3_PS9_SC_S9_12reduce_tupleIifEEE10hipError_tPvRmT1_T2_T3_mT4_P12ihipStream_tbEUlT_E1_NS1_11comp_targetILNS1_3genE4ELNS1_11target_archE910ELNS1_3gpuE8ELNS1_3repE0EEENS1_30default_config_static_selectorELNS0_4arch9wavefront6targetE0EEEvSI_.numbered_sgpr, 0
	.set _ZN7rocprim17ROCPRIM_400000_NS6detail17trampoline_kernelINS0_14default_configENS1_22reduce_config_selectorIN6thrust23THRUST_200600_302600_NS5tupleIbffNS6_9null_typeES8_S8_S8_S8_S8_S8_EEEEZNS1_11reduce_implILb1ES3_PS9_SC_S9_12reduce_tupleIifEEE10hipError_tPvRmT1_T2_T3_mT4_P12ihipStream_tbEUlT_E1_NS1_11comp_targetILNS1_3genE4ELNS1_11target_archE910ELNS1_3gpuE8ELNS1_3repE0EEENS1_30default_config_static_selectorELNS0_4arch9wavefront6targetE0EEEvSI_.num_named_barrier, 0
	.set _ZN7rocprim17ROCPRIM_400000_NS6detail17trampoline_kernelINS0_14default_configENS1_22reduce_config_selectorIN6thrust23THRUST_200600_302600_NS5tupleIbffNS6_9null_typeES8_S8_S8_S8_S8_S8_EEEEZNS1_11reduce_implILb1ES3_PS9_SC_S9_12reduce_tupleIifEEE10hipError_tPvRmT1_T2_T3_mT4_P12ihipStream_tbEUlT_E1_NS1_11comp_targetILNS1_3genE4ELNS1_11target_archE910ELNS1_3gpuE8ELNS1_3repE0EEENS1_30default_config_static_selectorELNS0_4arch9wavefront6targetE0EEEvSI_.private_seg_size, 0
	.set _ZN7rocprim17ROCPRIM_400000_NS6detail17trampoline_kernelINS0_14default_configENS1_22reduce_config_selectorIN6thrust23THRUST_200600_302600_NS5tupleIbffNS6_9null_typeES8_S8_S8_S8_S8_S8_EEEEZNS1_11reduce_implILb1ES3_PS9_SC_S9_12reduce_tupleIifEEE10hipError_tPvRmT1_T2_T3_mT4_P12ihipStream_tbEUlT_E1_NS1_11comp_targetILNS1_3genE4ELNS1_11target_archE910ELNS1_3gpuE8ELNS1_3repE0EEENS1_30default_config_static_selectorELNS0_4arch9wavefront6targetE0EEEvSI_.uses_vcc, 0
	.set _ZN7rocprim17ROCPRIM_400000_NS6detail17trampoline_kernelINS0_14default_configENS1_22reduce_config_selectorIN6thrust23THRUST_200600_302600_NS5tupleIbffNS6_9null_typeES8_S8_S8_S8_S8_S8_EEEEZNS1_11reduce_implILb1ES3_PS9_SC_S9_12reduce_tupleIifEEE10hipError_tPvRmT1_T2_T3_mT4_P12ihipStream_tbEUlT_E1_NS1_11comp_targetILNS1_3genE4ELNS1_11target_archE910ELNS1_3gpuE8ELNS1_3repE0EEENS1_30default_config_static_selectorELNS0_4arch9wavefront6targetE0EEEvSI_.uses_flat_scratch, 0
	.set _ZN7rocprim17ROCPRIM_400000_NS6detail17trampoline_kernelINS0_14default_configENS1_22reduce_config_selectorIN6thrust23THRUST_200600_302600_NS5tupleIbffNS6_9null_typeES8_S8_S8_S8_S8_S8_EEEEZNS1_11reduce_implILb1ES3_PS9_SC_S9_12reduce_tupleIifEEE10hipError_tPvRmT1_T2_T3_mT4_P12ihipStream_tbEUlT_E1_NS1_11comp_targetILNS1_3genE4ELNS1_11target_archE910ELNS1_3gpuE8ELNS1_3repE0EEENS1_30default_config_static_selectorELNS0_4arch9wavefront6targetE0EEEvSI_.has_dyn_sized_stack, 0
	.set _ZN7rocprim17ROCPRIM_400000_NS6detail17trampoline_kernelINS0_14default_configENS1_22reduce_config_selectorIN6thrust23THRUST_200600_302600_NS5tupleIbffNS6_9null_typeES8_S8_S8_S8_S8_S8_EEEEZNS1_11reduce_implILb1ES3_PS9_SC_S9_12reduce_tupleIifEEE10hipError_tPvRmT1_T2_T3_mT4_P12ihipStream_tbEUlT_E1_NS1_11comp_targetILNS1_3genE4ELNS1_11target_archE910ELNS1_3gpuE8ELNS1_3repE0EEENS1_30default_config_static_selectorELNS0_4arch9wavefront6targetE0EEEvSI_.has_recursion, 0
	.set _ZN7rocprim17ROCPRIM_400000_NS6detail17trampoline_kernelINS0_14default_configENS1_22reduce_config_selectorIN6thrust23THRUST_200600_302600_NS5tupleIbffNS6_9null_typeES8_S8_S8_S8_S8_S8_EEEEZNS1_11reduce_implILb1ES3_PS9_SC_S9_12reduce_tupleIifEEE10hipError_tPvRmT1_T2_T3_mT4_P12ihipStream_tbEUlT_E1_NS1_11comp_targetILNS1_3genE4ELNS1_11target_archE910ELNS1_3gpuE8ELNS1_3repE0EEENS1_30default_config_static_selectorELNS0_4arch9wavefront6targetE0EEEvSI_.has_indirect_call, 0
	.section	.AMDGPU.csdata,"",@progbits
; Kernel info:
; codeLenInByte = 0
; TotalNumSgprs: 0
; NumVgprs: 0
; ScratchSize: 0
; MemoryBound: 0
; FloatMode: 240
; IeeeMode: 1
; LDSByteSize: 0 bytes/workgroup (compile time only)
; SGPRBlocks: 0
; VGPRBlocks: 0
; NumSGPRsForWavesPerEU: 1
; NumVGPRsForWavesPerEU: 1
; Occupancy: 16
; WaveLimiterHint : 0
; COMPUTE_PGM_RSRC2:SCRATCH_EN: 0
; COMPUTE_PGM_RSRC2:USER_SGPR: 6
; COMPUTE_PGM_RSRC2:TRAP_HANDLER: 0
; COMPUTE_PGM_RSRC2:TGID_X_EN: 1
; COMPUTE_PGM_RSRC2:TGID_Y_EN: 0
; COMPUTE_PGM_RSRC2:TGID_Z_EN: 0
; COMPUTE_PGM_RSRC2:TIDIG_COMP_CNT: 0
	.section	.text._ZN7rocprim17ROCPRIM_400000_NS6detail17trampoline_kernelINS0_14default_configENS1_22reduce_config_selectorIN6thrust23THRUST_200600_302600_NS5tupleIbffNS6_9null_typeES8_S8_S8_S8_S8_S8_EEEEZNS1_11reduce_implILb1ES3_PS9_SC_S9_12reduce_tupleIifEEE10hipError_tPvRmT1_T2_T3_mT4_P12ihipStream_tbEUlT_E1_NS1_11comp_targetILNS1_3genE3ELNS1_11target_archE908ELNS1_3gpuE7ELNS1_3repE0EEENS1_30default_config_static_selectorELNS0_4arch9wavefront6targetE0EEEvSI_,"axG",@progbits,_ZN7rocprim17ROCPRIM_400000_NS6detail17trampoline_kernelINS0_14default_configENS1_22reduce_config_selectorIN6thrust23THRUST_200600_302600_NS5tupleIbffNS6_9null_typeES8_S8_S8_S8_S8_S8_EEEEZNS1_11reduce_implILb1ES3_PS9_SC_S9_12reduce_tupleIifEEE10hipError_tPvRmT1_T2_T3_mT4_P12ihipStream_tbEUlT_E1_NS1_11comp_targetILNS1_3genE3ELNS1_11target_archE908ELNS1_3gpuE7ELNS1_3repE0EEENS1_30default_config_static_selectorELNS0_4arch9wavefront6targetE0EEEvSI_,comdat
	.protected	_ZN7rocprim17ROCPRIM_400000_NS6detail17trampoline_kernelINS0_14default_configENS1_22reduce_config_selectorIN6thrust23THRUST_200600_302600_NS5tupleIbffNS6_9null_typeES8_S8_S8_S8_S8_S8_EEEEZNS1_11reduce_implILb1ES3_PS9_SC_S9_12reduce_tupleIifEEE10hipError_tPvRmT1_T2_T3_mT4_P12ihipStream_tbEUlT_E1_NS1_11comp_targetILNS1_3genE3ELNS1_11target_archE908ELNS1_3gpuE7ELNS1_3repE0EEENS1_30default_config_static_selectorELNS0_4arch9wavefront6targetE0EEEvSI_ ; -- Begin function _ZN7rocprim17ROCPRIM_400000_NS6detail17trampoline_kernelINS0_14default_configENS1_22reduce_config_selectorIN6thrust23THRUST_200600_302600_NS5tupleIbffNS6_9null_typeES8_S8_S8_S8_S8_S8_EEEEZNS1_11reduce_implILb1ES3_PS9_SC_S9_12reduce_tupleIifEEE10hipError_tPvRmT1_T2_T3_mT4_P12ihipStream_tbEUlT_E1_NS1_11comp_targetILNS1_3genE3ELNS1_11target_archE908ELNS1_3gpuE7ELNS1_3repE0EEENS1_30default_config_static_selectorELNS0_4arch9wavefront6targetE0EEEvSI_
	.globl	_ZN7rocprim17ROCPRIM_400000_NS6detail17trampoline_kernelINS0_14default_configENS1_22reduce_config_selectorIN6thrust23THRUST_200600_302600_NS5tupleIbffNS6_9null_typeES8_S8_S8_S8_S8_S8_EEEEZNS1_11reduce_implILb1ES3_PS9_SC_S9_12reduce_tupleIifEEE10hipError_tPvRmT1_T2_T3_mT4_P12ihipStream_tbEUlT_E1_NS1_11comp_targetILNS1_3genE3ELNS1_11target_archE908ELNS1_3gpuE7ELNS1_3repE0EEENS1_30default_config_static_selectorELNS0_4arch9wavefront6targetE0EEEvSI_
	.p2align	8
	.type	_ZN7rocprim17ROCPRIM_400000_NS6detail17trampoline_kernelINS0_14default_configENS1_22reduce_config_selectorIN6thrust23THRUST_200600_302600_NS5tupleIbffNS6_9null_typeES8_S8_S8_S8_S8_S8_EEEEZNS1_11reduce_implILb1ES3_PS9_SC_S9_12reduce_tupleIifEEE10hipError_tPvRmT1_T2_T3_mT4_P12ihipStream_tbEUlT_E1_NS1_11comp_targetILNS1_3genE3ELNS1_11target_archE908ELNS1_3gpuE7ELNS1_3repE0EEENS1_30default_config_static_selectorELNS0_4arch9wavefront6targetE0EEEvSI_,@function
_ZN7rocprim17ROCPRIM_400000_NS6detail17trampoline_kernelINS0_14default_configENS1_22reduce_config_selectorIN6thrust23THRUST_200600_302600_NS5tupleIbffNS6_9null_typeES8_S8_S8_S8_S8_S8_EEEEZNS1_11reduce_implILb1ES3_PS9_SC_S9_12reduce_tupleIifEEE10hipError_tPvRmT1_T2_T3_mT4_P12ihipStream_tbEUlT_E1_NS1_11comp_targetILNS1_3genE3ELNS1_11target_archE908ELNS1_3gpuE7ELNS1_3repE0EEENS1_30default_config_static_selectorELNS0_4arch9wavefront6targetE0EEEvSI_: ; @_ZN7rocprim17ROCPRIM_400000_NS6detail17trampoline_kernelINS0_14default_configENS1_22reduce_config_selectorIN6thrust23THRUST_200600_302600_NS5tupleIbffNS6_9null_typeES8_S8_S8_S8_S8_S8_EEEEZNS1_11reduce_implILb1ES3_PS9_SC_S9_12reduce_tupleIifEEE10hipError_tPvRmT1_T2_T3_mT4_P12ihipStream_tbEUlT_E1_NS1_11comp_targetILNS1_3genE3ELNS1_11target_archE908ELNS1_3gpuE7ELNS1_3repE0EEENS1_30default_config_static_selectorELNS0_4arch9wavefront6targetE0EEEvSI_
; %bb.0:
	.section	.rodata,"a",@progbits
	.p2align	6, 0x0
	.amdhsa_kernel _ZN7rocprim17ROCPRIM_400000_NS6detail17trampoline_kernelINS0_14default_configENS1_22reduce_config_selectorIN6thrust23THRUST_200600_302600_NS5tupleIbffNS6_9null_typeES8_S8_S8_S8_S8_S8_EEEEZNS1_11reduce_implILb1ES3_PS9_SC_S9_12reduce_tupleIifEEE10hipError_tPvRmT1_T2_T3_mT4_P12ihipStream_tbEUlT_E1_NS1_11comp_targetILNS1_3genE3ELNS1_11target_archE908ELNS1_3gpuE7ELNS1_3repE0EEENS1_30default_config_static_selectorELNS0_4arch9wavefront6targetE0EEEvSI_
		.amdhsa_group_segment_fixed_size 0
		.amdhsa_private_segment_fixed_size 0
		.amdhsa_kernarg_size 48
		.amdhsa_user_sgpr_count 6
		.amdhsa_user_sgpr_private_segment_buffer 1
		.amdhsa_user_sgpr_dispatch_ptr 0
		.amdhsa_user_sgpr_queue_ptr 0
		.amdhsa_user_sgpr_kernarg_segment_ptr 1
		.amdhsa_user_sgpr_dispatch_id 0
		.amdhsa_user_sgpr_flat_scratch_init 0
		.amdhsa_user_sgpr_private_segment_size 0
		.amdhsa_wavefront_size32 1
		.amdhsa_uses_dynamic_stack 0
		.amdhsa_system_sgpr_private_segment_wavefront_offset 0
		.amdhsa_system_sgpr_workgroup_id_x 1
		.amdhsa_system_sgpr_workgroup_id_y 0
		.amdhsa_system_sgpr_workgroup_id_z 0
		.amdhsa_system_sgpr_workgroup_info 0
		.amdhsa_system_vgpr_workitem_id 0
		.amdhsa_next_free_vgpr 1
		.amdhsa_next_free_sgpr 1
		.amdhsa_reserve_vcc 0
		.amdhsa_reserve_flat_scratch 0
		.amdhsa_float_round_mode_32 0
		.amdhsa_float_round_mode_16_64 0
		.amdhsa_float_denorm_mode_32 3
		.amdhsa_float_denorm_mode_16_64 3
		.amdhsa_dx10_clamp 1
		.amdhsa_ieee_mode 1
		.amdhsa_fp16_overflow 0
		.amdhsa_workgroup_processor_mode 1
		.amdhsa_memory_ordered 1
		.amdhsa_forward_progress 1
		.amdhsa_shared_vgpr_count 0
		.amdhsa_exception_fp_ieee_invalid_op 0
		.amdhsa_exception_fp_denorm_src 0
		.amdhsa_exception_fp_ieee_div_zero 0
		.amdhsa_exception_fp_ieee_overflow 0
		.amdhsa_exception_fp_ieee_underflow 0
		.amdhsa_exception_fp_ieee_inexact 0
		.amdhsa_exception_int_div_zero 0
	.end_amdhsa_kernel
	.section	.text._ZN7rocprim17ROCPRIM_400000_NS6detail17trampoline_kernelINS0_14default_configENS1_22reduce_config_selectorIN6thrust23THRUST_200600_302600_NS5tupleIbffNS6_9null_typeES8_S8_S8_S8_S8_S8_EEEEZNS1_11reduce_implILb1ES3_PS9_SC_S9_12reduce_tupleIifEEE10hipError_tPvRmT1_T2_T3_mT4_P12ihipStream_tbEUlT_E1_NS1_11comp_targetILNS1_3genE3ELNS1_11target_archE908ELNS1_3gpuE7ELNS1_3repE0EEENS1_30default_config_static_selectorELNS0_4arch9wavefront6targetE0EEEvSI_,"axG",@progbits,_ZN7rocprim17ROCPRIM_400000_NS6detail17trampoline_kernelINS0_14default_configENS1_22reduce_config_selectorIN6thrust23THRUST_200600_302600_NS5tupleIbffNS6_9null_typeES8_S8_S8_S8_S8_S8_EEEEZNS1_11reduce_implILb1ES3_PS9_SC_S9_12reduce_tupleIifEEE10hipError_tPvRmT1_T2_T3_mT4_P12ihipStream_tbEUlT_E1_NS1_11comp_targetILNS1_3genE3ELNS1_11target_archE908ELNS1_3gpuE7ELNS1_3repE0EEENS1_30default_config_static_selectorELNS0_4arch9wavefront6targetE0EEEvSI_,comdat
.Lfunc_end13:
	.size	_ZN7rocprim17ROCPRIM_400000_NS6detail17trampoline_kernelINS0_14default_configENS1_22reduce_config_selectorIN6thrust23THRUST_200600_302600_NS5tupleIbffNS6_9null_typeES8_S8_S8_S8_S8_S8_EEEEZNS1_11reduce_implILb1ES3_PS9_SC_S9_12reduce_tupleIifEEE10hipError_tPvRmT1_T2_T3_mT4_P12ihipStream_tbEUlT_E1_NS1_11comp_targetILNS1_3genE3ELNS1_11target_archE908ELNS1_3gpuE7ELNS1_3repE0EEENS1_30default_config_static_selectorELNS0_4arch9wavefront6targetE0EEEvSI_, .Lfunc_end13-_ZN7rocprim17ROCPRIM_400000_NS6detail17trampoline_kernelINS0_14default_configENS1_22reduce_config_selectorIN6thrust23THRUST_200600_302600_NS5tupleIbffNS6_9null_typeES8_S8_S8_S8_S8_S8_EEEEZNS1_11reduce_implILb1ES3_PS9_SC_S9_12reduce_tupleIifEEE10hipError_tPvRmT1_T2_T3_mT4_P12ihipStream_tbEUlT_E1_NS1_11comp_targetILNS1_3genE3ELNS1_11target_archE908ELNS1_3gpuE7ELNS1_3repE0EEENS1_30default_config_static_selectorELNS0_4arch9wavefront6targetE0EEEvSI_
                                        ; -- End function
	.set _ZN7rocprim17ROCPRIM_400000_NS6detail17trampoline_kernelINS0_14default_configENS1_22reduce_config_selectorIN6thrust23THRUST_200600_302600_NS5tupleIbffNS6_9null_typeES8_S8_S8_S8_S8_S8_EEEEZNS1_11reduce_implILb1ES3_PS9_SC_S9_12reduce_tupleIifEEE10hipError_tPvRmT1_T2_T3_mT4_P12ihipStream_tbEUlT_E1_NS1_11comp_targetILNS1_3genE3ELNS1_11target_archE908ELNS1_3gpuE7ELNS1_3repE0EEENS1_30default_config_static_selectorELNS0_4arch9wavefront6targetE0EEEvSI_.num_vgpr, 0
	.set _ZN7rocprim17ROCPRIM_400000_NS6detail17trampoline_kernelINS0_14default_configENS1_22reduce_config_selectorIN6thrust23THRUST_200600_302600_NS5tupleIbffNS6_9null_typeES8_S8_S8_S8_S8_S8_EEEEZNS1_11reduce_implILb1ES3_PS9_SC_S9_12reduce_tupleIifEEE10hipError_tPvRmT1_T2_T3_mT4_P12ihipStream_tbEUlT_E1_NS1_11comp_targetILNS1_3genE3ELNS1_11target_archE908ELNS1_3gpuE7ELNS1_3repE0EEENS1_30default_config_static_selectorELNS0_4arch9wavefront6targetE0EEEvSI_.num_agpr, 0
	.set _ZN7rocprim17ROCPRIM_400000_NS6detail17trampoline_kernelINS0_14default_configENS1_22reduce_config_selectorIN6thrust23THRUST_200600_302600_NS5tupleIbffNS6_9null_typeES8_S8_S8_S8_S8_S8_EEEEZNS1_11reduce_implILb1ES3_PS9_SC_S9_12reduce_tupleIifEEE10hipError_tPvRmT1_T2_T3_mT4_P12ihipStream_tbEUlT_E1_NS1_11comp_targetILNS1_3genE3ELNS1_11target_archE908ELNS1_3gpuE7ELNS1_3repE0EEENS1_30default_config_static_selectorELNS0_4arch9wavefront6targetE0EEEvSI_.numbered_sgpr, 0
	.set _ZN7rocprim17ROCPRIM_400000_NS6detail17trampoline_kernelINS0_14default_configENS1_22reduce_config_selectorIN6thrust23THRUST_200600_302600_NS5tupleIbffNS6_9null_typeES8_S8_S8_S8_S8_S8_EEEEZNS1_11reduce_implILb1ES3_PS9_SC_S9_12reduce_tupleIifEEE10hipError_tPvRmT1_T2_T3_mT4_P12ihipStream_tbEUlT_E1_NS1_11comp_targetILNS1_3genE3ELNS1_11target_archE908ELNS1_3gpuE7ELNS1_3repE0EEENS1_30default_config_static_selectorELNS0_4arch9wavefront6targetE0EEEvSI_.num_named_barrier, 0
	.set _ZN7rocprim17ROCPRIM_400000_NS6detail17trampoline_kernelINS0_14default_configENS1_22reduce_config_selectorIN6thrust23THRUST_200600_302600_NS5tupleIbffNS6_9null_typeES8_S8_S8_S8_S8_S8_EEEEZNS1_11reduce_implILb1ES3_PS9_SC_S9_12reduce_tupleIifEEE10hipError_tPvRmT1_T2_T3_mT4_P12ihipStream_tbEUlT_E1_NS1_11comp_targetILNS1_3genE3ELNS1_11target_archE908ELNS1_3gpuE7ELNS1_3repE0EEENS1_30default_config_static_selectorELNS0_4arch9wavefront6targetE0EEEvSI_.private_seg_size, 0
	.set _ZN7rocprim17ROCPRIM_400000_NS6detail17trampoline_kernelINS0_14default_configENS1_22reduce_config_selectorIN6thrust23THRUST_200600_302600_NS5tupleIbffNS6_9null_typeES8_S8_S8_S8_S8_S8_EEEEZNS1_11reduce_implILb1ES3_PS9_SC_S9_12reduce_tupleIifEEE10hipError_tPvRmT1_T2_T3_mT4_P12ihipStream_tbEUlT_E1_NS1_11comp_targetILNS1_3genE3ELNS1_11target_archE908ELNS1_3gpuE7ELNS1_3repE0EEENS1_30default_config_static_selectorELNS0_4arch9wavefront6targetE0EEEvSI_.uses_vcc, 0
	.set _ZN7rocprim17ROCPRIM_400000_NS6detail17trampoline_kernelINS0_14default_configENS1_22reduce_config_selectorIN6thrust23THRUST_200600_302600_NS5tupleIbffNS6_9null_typeES8_S8_S8_S8_S8_S8_EEEEZNS1_11reduce_implILb1ES3_PS9_SC_S9_12reduce_tupleIifEEE10hipError_tPvRmT1_T2_T3_mT4_P12ihipStream_tbEUlT_E1_NS1_11comp_targetILNS1_3genE3ELNS1_11target_archE908ELNS1_3gpuE7ELNS1_3repE0EEENS1_30default_config_static_selectorELNS0_4arch9wavefront6targetE0EEEvSI_.uses_flat_scratch, 0
	.set _ZN7rocprim17ROCPRIM_400000_NS6detail17trampoline_kernelINS0_14default_configENS1_22reduce_config_selectorIN6thrust23THRUST_200600_302600_NS5tupleIbffNS6_9null_typeES8_S8_S8_S8_S8_S8_EEEEZNS1_11reduce_implILb1ES3_PS9_SC_S9_12reduce_tupleIifEEE10hipError_tPvRmT1_T2_T3_mT4_P12ihipStream_tbEUlT_E1_NS1_11comp_targetILNS1_3genE3ELNS1_11target_archE908ELNS1_3gpuE7ELNS1_3repE0EEENS1_30default_config_static_selectorELNS0_4arch9wavefront6targetE0EEEvSI_.has_dyn_sized_stack, 0
	.set _ZN7rocprim17ROCPRIM_400000_NS6detail17trampoline_kernelINS0_14default_configENS1_22reduce_config_selectorIN6thrust23THRUST_200600_302600_NS5tupleIbffNS6_9null_typeES8_S8_S8_S8_S8_S8_EEEEZNS1_11reduce_implILb1ES3_PS9_SC_S9_12reduce_tupleIifEEE10hipError_tPvRmT1_T2_T3_mT4_P12ihipStream_tbEUlT_E1_NS1_11comp_targetILNS1_3genE3ELNS1_11target_archE908ELNS1_3gpuE7ELNS1_3repE0EEENS1_30default_config_static_selectorELNS0_4arch9wavefront6targetE0EEEvSI_.has_recursion, 0
	.set _ZN7rocprim17ROCPRIM_400000_NS6detail17trampoline_kernelINS0_14default_configENS1_22reduce_config_selectorIN6thrust23THRUST_200600_302600_NS5tupleIbffNS6_9null_typeES8_S8_S8_S8_S8_S8_EEEEZNS1_11reduce_implILb1ES3_PS9_SC_S9_12reduce_tupleIifEEE10hipError_tPvRmT1_T2_T3_mT4_P12ihipStream_tbEUlT_E1_NS1_11comp_targetILNS1_3genE3ELNS1_11target_archE908ELNS1_3gpuE7ELNS1_3repE0EEENS1_30default_config_static_selectorELNS0_4arch9wavefront6targetE0EEEvSI_.has_indirect_call, 0
	.section	.AMDGPU.csdata,"",@progbits
; Kernel info:
; codeLenInByte = 0
; TotalNumSgprs: 0
; NumVgprs: 0
; ScratchSize: 0
; MemoryBound: 0
; FloatMode: 240
; IeeeMode: 1
; LDSByteSize: 0 bytes/workgroup (compile time only)
; SGPRBlocks: 0
; VGPRBlocks: 0
; NumSGPRsForWavesPerEU: 1
; NumVGPRsForWavesPerEU: 1
; Occupancy: 16
; WaveLimiterHint : 0
; COMPUTE_PGM_RSRC2:SCRATCH_EN: 0
; COMPUTE_PGM_RSRC2:USER_SGPR: 6
; COMPUTE_PGM_RSRC2:TRAP_HANDLER: 0
; COMPUTE_PGM_RSRC2:TGID_X_EN: 1
; COMPUTE_PGM_RSRC2:TGID_Y_EN: 0
; COMPUTE_PGM_RSRC2:TGID_Z_EN: 0
; COMPUTE_PGM_RSRC2:TIDIG_COMP_CNT: 0
	.section	.text._ZN7rocprim17ROCPRIM_400000_NS6detail17trampoline_kernelINS0_14default_configENS1_22reduce_config_selectorIN6thrust23THRUST_200600_302600_NS5tupleIbffNS6_9null_typeES8_S8_S8_S8_S8_S8_EEEEZNS1_11reduce_implILb1ES3_PS9_SC_S9_12reduce_tupleIifEEE10hipError_tPvRmT1_T2_T3_mT4_P12ihipStream_tbEUlT_E1_NS1_11comp_targetILNS1_3genE2ELNS1_11target_archE906ELNS1_3gpuE6ELNS1_3repE0EEENS1_30default_config_static_selectorELNS0_4arch9wavefront6targetE0EEEvSI_,"axG",@progbits,_ZN7rocprim17ROCPRIM_400000_NS6detail17trampoline_kernelINS0_14default_configENS1_22reduce_config_selectorIN6thrust23THRUST_200600_302600_NS5tupleIbffNS6_9null_typeES8_S8_S8_S8_S8_S8_EEEEZNS1_11reduce_implILb1ES3_PS9_SC_S9_12reduce_tupleIifEEE10hipError_tPvRmT1_T2_T3_mT4_P12ihipStream_tbEUlT_E1_NS1_11comp_targetILNS1_3genE2ELNS1_11target_archE906ELNS1_3gpuE6ELNS1_3repE0EEENS1_30default_config_static_selectorELNS0_4arch9wavefront6targetE0EEEvSI_,comdat
	.protected	_ZN7rocprim17ROCPRIM_400000_NS6detail17trampoline_kernelINS0_14default_configENS1_22reduce_config_selectorIN6thrust23THRUST_200600_302600_NS5tupleIbffNS6_9null_typeES8_S8_S8_S8_S8_S8_EEEEZNS1_11reduce_implILb1ES3_PS9_SC_S9_12reduce_tupleIifEEE10hipError_tPvRmT1_T2_T3_mT4_P12ihipStream_tbEUlT_E1_NS1_11comp_targetILNS1_3genE2ELNS1_11target_archE906ELNS1_3gpuE6ELNS1_3repE0EEENS1_30default_config_static_selectorELNS0_4arch9wavefront6targetE0EEEvSI_ ; -- Begin function _ZN7rocprim17ROCPRIM_400000_NS6detail17trampoline_kernelINS0_14default_configENS1_22reduce_config_selectorIN6thrust23THRUST_200600_302600_NS5tupleIbffNS6_9null_typeES8_S8_S8_S8_S8_S8_EEEEZNS1_11reduce_implILb1ES3_PS9_SC_S9_12reduce_tupleIifEEE10hipError_tPvRmT1_T2_T3_mT4_P12ihipStream_tbEUlT_E1_NS1_11comp_targetILNS1_3genE2ELNS1_11target_archE906ELNS1_3gpuE6ELNS1_3repE0EEENS1_30default_config_static_selectorELNS0_4arch9wavefront6targetE0EEEvSI_
	.globl	_ZN7rocprim17ROCPRIM_400000_NS6detail17trampoline_kernelINS0_14default_configENS1_22reduce_config_selectorIN6thrust23THRUST_200600_302600_NS5tupleIbffNS6_9null_typeES8_S8_S8_S8_S8_S8_EEEEZNS1_11reduce_implILb1ES3_PS9_SC_S9_12reduce_tupleIifEEE10hipError_tPvRmT1_T2_T3_mT4_P12ihipStream_tbEUlT_E1_NS1_11comp_targetILNS1_3genE2ELNS1_11target_archE906ELNS1_3gpuE6ELNS1_3repE0EEENS1_30default_config_static_selectorELNS0_4arch9wavefront6targetE0EEEvSI_
	.p2align	8
	.type	_ZN7rocprim17ROCPRIM_400000_NS6detail17trampoline_kernelINS0_14default_configENS1_22reduce_config_selectorIN6thrust23THRUST_200600_302600_NS5tupleIbffNS6_9null_typeES8_S8_S8_S8_S8_S8_EEEEZNS1_11reduce_implILb1ES3_PS9_SC_S9_12reduce_tupleIifEEE10hipError_tPvRmT1_T2_T3_mT4_P12ihipStream_tbEUlT_E1_NS1_11comp_targetILNS1_3genE2ELNS1_11target_archE906ELNS1_3gpuE6ELNS1_3repE0EEENS1_30default_config_static_selectorELNS0_4arch9wavefront6targetE0EEEvSI_,@function
_ZN7rocprim17ROCPRIM_400000_NS6detail17trampoline_kernelINS0_14default_configENS1_22reduce_config_selectorIN6thrust23THRUST_200600_302600_NS5tupleIbffNS6_9null_typeES8_S8_S8_S8_S8_S8_EEEEZNS1_11reduce_implILb1ES3_PS9_SC_S9_12reduce_tupleIifEEE10hipError_tPvRmT1_T2_T3_mT4_P12ihipStream_tbEUlT_E1_NS1_11comp_targetILNS1_3genE2ELNS1_11target_archE906ELNS1_3gpuE6ELNS1_3repE0EEENS1_30default_config_static_selectorELNS0_4arch9wavefront6targetE0EEEvSI_: ; @_ZN7rocprim17ROCPRIM_400000_NS6detail17trampoline_kernelINS0_14default_configENS1_22reduce_config_selectorIN6thrust23THRUST_200600_302600_NS5tupleIbffNS6_9null_typeES8_S8_S8_S8_S8_S8_EEEEZNS1_11reduce_implILb1ES3_PS9_SC_S9_12reduce_tupleIifEEE10hipError_tPvRmT1_T2_T3_mT4_P12ihipStream_tbEUlT_E1_NS1_11comp_targetILNS1_3genE2ELNS1_11target_archE906ELNS1_3gpuE6ELNS1_3repE0EEENS1_30default_config_static_selectorELNS0_4arch9wavefront6targetE0EEEvSI_
; %bb.0:
	.section	.rodata,"a",@progbits
	.p2align	6, 0x0
	.amdhsa_kernel _ZN7rocprim17ROCPRIM_400000_NS6detail17trampoline_kernelINS0_14default_configENS1_22reduce_config_selectorIN6thrust23THRUST_200600_302600_NS5tupleIbffNS6_9null_typeES8_S8_S8_S8_S8_S8_EEEEZNS1_11reduce_implILb1ES3_PS9_SC_S9_12reduce_tupleIifEEE10hipError_tPvRmT1_T2_T3_mT4_P12ihipStream_tbEUlT_E1_NS1_11comp_targetILNS1_3genE2ELNS1_11target_archE906ELNS1_3gpuE6ELNS1_3repE0EEENS1_30default_config_static_selectorELNS0_4arch9wavefront6targetE0EEEvSI_
		.amdhsa_group_segment_fixed_size 0
		.amdhsa_private_segment_fixed_size 0
		.amdhsa_kernarg_size 48
		.amdhsa_user_sgpr_count 6
		.amdhsa_user_sgpr_private_segment_buffer 1
		.amdhsa_user_sgpr_dispatch_ptr 0
		.amdhsa_user_sgpr_queue_ptr 0
		.amdhsa_user_sgpr_kernarg_segment_ptr 1
		.amdhsa_user_sgpr_dispatch_id 0
		.amdhsa_user_sgpr_flat_scratch_init 0
		.amdhsa_user_sgpr_private_segment_size 0
		.amdhsa_wavefront_size32 1
		.amdhsa_uses_dynamic_stack 0
		.amdhsa_system_sgpr_private_segment_wavefront_offset 0
		.amdhsa_system_sgpr_workgroup_id_x 1
		.amdhsa_system_sgpr_workgroup_id_y 0
		.amdhsa_system_sgpr_workgroup_id_z 0
		.amdhsa_system_sgpr_workgroup_info 0
		.amdhsa_system_vgpr_workitem_id 0
		.amdhsa_next_free_vgpr 1
		.amdhsa_next_free_sgpr 1
		.amdhsa_reserve_vcc 0
		.amdhsa_reserve_flat_scratch 0
		.amdhsa_float_round_mode_32 0
		.amdhsa_float_round_mode_16_64 0
		.amdhsa_float_denorm_mode_32 3
		.amdhsa_float_denorm_mode_16_64 3
		.amdhsa_dx10_clamp 1
		.amdhsa_ieee_mode 1
		.amdhsa_fp16_overflow 0
		.amdhsa_workgroup_processor_mode 1
		.amdhsa_memory_ordered 1
		.amdhsa_forward_progress 1
		.amdhsa_shared_vgpr_count 0
		.amdhsa_exception_fp_ieee_invalid_op 0
		.amdhsa_exception_fp_denorm_src 0
		.amdhsa_exception_fp_ieee_div_zero 0
		.amdhsa_exception_fp_ieee_overflow 0
		.amdhsa_exception_fp_ieee_underflow 0
		.amdhsa_exception_fp_ieee_inexact 0
		.amdhsa_exception_int_div_zero 0
	.end_amdhsa_kernel
	.section	.text._ZN7rocprim17ROCPRIM_400000_NS6detail17trampoline_kernelINS0_14default_configENS1_22reduce_config_selectorIN6thrust23THRUST_200600_302600_NS5tupleIbffNS6_9null_typeES8_S8_S8_S8_S8_S8_EEEEZNS1_11reduce_implILb1ES3_PS9_SC_S9_12reduce_tupleIifEEE10hipError_tPvRmT1_T2_T3_mT4_P12ihipStream_tbEUlT_E1_NS1_11comp_targetILNS1_3genE2ELNS1_11target_archE906ELNS1_3gpuE6ELNS1_3repE0EEENS1_30default_config_static_selectorELNS0_4arch9wavefront6targetE0EEEvSI_,"axG",@progbits,_ZN7rocprim17ROCPRIM_400000_NS6detail17trampoline_kernelINS0_14default_configENS1_22reduce_config_selectorIN6thrust23THRUST_200600_302600_NS5tupleIbffNS6_9null_typeES8_S8_S8_S8_S8_S8_EEEEZNS1_11reduce_implILb1ES3_PS9_SC_S9_12reduce_tupleIifEEE10hipError_tPvRmT1_T2_T3_mT4_P12ihipStream_tbEUlT_E1_NS1_11comp_targetILNS1_3genE2ELNS1_11target_archE906ELNS1_3gpuE6ELNS1_3repE0EEENS1_30default_config_static_selectorELNS0_4arch9wavefront6targetE0EEEvSI_,comdat
.Lfunc_end14:
	.size	_ZN7rocprim17ROCPRIM_400000_NS6detail17trampoline_kernelINS0_14default_configENS1_22reduce_config_selectorIN6thrust23THRUST_200600_302600_NS5tupleIbffNS6_9null_typeES8_S8_S8_S8_S8_S8_EEEEZNS1_11reduce_implILb1ES3_PS9_SC_S9_12reduce_tupleIifEEE10hipError_tPvRmT1_T2_T3_mT4_P12ihipStream_tbEUlT_E1_NS1_11comp_targetILNS1_3genE2ELNS1_11target_archE906ELNS1_3gpuE6ELNS1_3repE0EEENS1_30default_config_static_selectorELNS0_4arch9wavefront6targetE0EEEvSI_, .Lfunc_end14-_ZN7rocprim17ROCPRIM_400000_NS6detail17trampoline_kernelINS0_14default_configENS1_22reduce_config_selectorIN6thrust23THRUST_200600_302600_NS5tupleIbffNS6_9null_typeES8_S8_S8_S8_S8_S8_EEEEZNS1_11reduce_implILb1ES3_PS9_SC_S9_12reduce_tupleIifEEE10hipError_tPvRmT1_T2_T3_mT4_P12ihipStream_tbEUlT_E1_NS1_11comp_targetILNS1_3genE2ELNS1_11target_archE906ELNS1_3gpuE6ELNS1_3repE0EEENS1_30default_config_static_selectorELNS0_4arch9wavefront6targetE0EEEvSI_
                                        ; -- End function
	.set _ZN7rocprim17ROCPRIM_400000_NS6detail17trampoline_kernelINS0_14default_configENS1_22reduce_config_selectorIN6thrust23THRUST_200600_302600_NS5tupleIbffNS6_9null_typeES8_S8_S8_S8_S8_S8_EEEEZNS1_11reduce_implILb1ES3_PS9_SC_S9_12reduce_tupleIifEEE10hipError_tPvRmT1_T2_T3_mT4_P12ihipStream_tbEUlT_E1_NS1_11comp_targetILNS1_3genE2ELNS1_11target_archE906ELNS1_3gpuE6ELNS1_3repE0EEENS1_30default_config_static_selectorELNS0_4arch9wavefront6targetE0EEEvSI_.num_vgpr, 0
	.set _ZN7rocprim17ROCPRIM_400000_NS6detail17trampoline_kernelINS0_14default_configENS1_22reduce_config_selectorIN6thrust23THRUST_200600_302600_NS5tupleIbffNS6_9null_typeES8_S8_S8_S8_S8_S8_EEEEZNS1_11reduce_implILb1ES3_PS9_SC_S9_12reduce_tupleIifEEE10hipError_tPvRmT1_T2_T3_mT4_P12ihipStream_tbEUlT_E1_NS1_11comp_targetILNS1_3genE2ELNS1_11target_archE906ELNS1_3gpuE6ELNS1_3repE0EEENS1_30default_config_static_selectorELNS0_4arch9wavefront6targetE0EEEvSI_.num_agpr, 0
	.set _ZN7rocprim17ROCPRIM_400000_NS6detail17trampoline_kernelINS0_14default_configENS1_22reduce_config_selectorIN6thrust23THRUST_200600_302600_NS5tupleIbffNS6_9null_typeES8_S8_S8_S8_S8_S8_EEEEZNS1_11reduce_implILb1ES3_PS9_SC_S9_12reduce_tupleIifEEE10hipError_tPvRmT1_T2_T3_mT4_P12ihipStream_tbEUlT_E1_NS1_11comp_targetILNS1_3genE2ELNS1_11target_archE906ELNS1_3gpuE6ELNS1_3repE0EEENS1_30default_config_static_selectorELNS0_4arch9wavefront6targetE0EEEvSI_.numbered_sgpr, 0
	.set _ZN7rocprim17ROCPRIM_400000_NS6detail17trampoline_kernelINS0_14default_configENS1_22reduce_config_selectorIN6thrust23THRUST_200600_302600_NS5tupleIbffNS6_9null_typeES8_S8_S8_S8_S8_S8_EEEEZNS1_11reduce_implILb1ES3_PS9_SC_S9_12reduce_tupleIifEEE10hipError_tPvRmT1_T2_T3_mT4_P12ihipStream_tbEUlT_E1_NS1_11comp_targetILNS1_3genE2ELNS1_11target_archE906ELNS1_3gpuE6ELNS1_3repE0EEENS1_30default_config_static_selectorELNS0_4arch9wavefront6targetE0EEEvSI_.num_named_barrier, 0
	.set _ZN7rocprim17ROCPRIM_400000_NS6detail17trampoline_kernelINS0_14default_configENS1_22reduce_config_selectorIN6thrust23THRUST_200600_302600_NS5tupleIbffNS6_9null_typeES8_S8_S8_S8_S8_S8_EEEEZNS1_11reduce_implILb1ES3_PS9_SC_S9_12reduce_tupleIifEEE10hipError_tPvRmT1_T2_T3_mT4_P12ihipStream_tbEUlT_E1_NS1_11comp_targetILNS1_3genE2ELNS1_11target_archE906ELNS1_3gpuE6ELNS1_3repE0EEENS1_30default_config_static_selectorELNS0_4arch9wavefront6targetE0EEEvSI_.private_seg_size, 0
	.set _ZN7rocprim17ROCPRIM_400000_NS6detail17trampoline_kernelINS0_14default_configENS1_22reduce_config_selectorIN6thrust23THRUST_200600_302600_NS5tupleIbffNS6_9null_typeES8_S8_S8_S8_S8_S8_EEEEZNS1_11reduce_implILb1ES3_PS9_SC_S9_12reduce_tupleIifEEE10hipError_tPvRmT1_T2_T3_mT4_P12ihipStream_tbEUlT_E1_NS1_11comp_targetILNS1_3genE2ELNS1_11target_archE906ELNS1_3gpuE6ELNS1_3repE0EEENS1_30default_config_static_selectorELNS0_4arch9wavefront6targetE0EEEvSI_.uses_vcc, 0
	.set _ZN7rocprim17ROCPRIM_400000_NS6detail17trampoline_kernelINS0_14default_configENS1_22reduce_config_selectorIN6thrust23THRUST_200600_302600_NS5tupleIbffNS6_9null_typeES8_S8_S8_S8_S8_S8_EEEEZNS1_11reduce_implILb1ES3_PS9_SC_S9_12reduce_tupleIifEEE10hipError_tPvRmT1_T2_T3_mT4_P12ihipStream_tbEUlT_E1_NS1_11comp_targetILNS1_3genE2ELNS1_11target_archE906ELNS1_3gpuE6ELNS1_3repE0EEENS1_30default_config_static_selectorELNS0_4arch9wavefront6targetE0EEEvSI_.uses_flat_scratch, 0
	.set _ZN7rocprim17ROCPRIM_400000_NS6detail17trampoline_kernelINS0_14default_configENS1_22reduce_config_selectorIN6thrust23THRUST_200600_302600_NS5tupleIbffNS6_9null_typeES8_S8_S8_S8_S8_S8_EEEEZNS1_11reduce_implILb1ES3_PS9_SC_S9_12reduce_tupleIifEEE10hipError_tPvRmT1_T2_T3_mT4_P12ihipStream_tbEUlT_E1_NS1_11comp_targetILNS1_3genE2ELNS1_11target_archE906ELNS1_3gpuE6ELNS1_3repE0EEENS1_30default_config_static_selectorELNS0_4arch9wavefront6targetE0EEEvSI_.has_dyn_sized_stack, 0
	.set _ZN7rocprim17ROCPRIM_400000_NS6detail17trampoline_kernelINS0_14default_configENS1_22reduce_config_selectorIN6thrust23THRUST_200600_302600_NS5tupleIbffNS6_9null_typeES8_S8_S8_S8_S8_S8_EEEEZNS1_11reduce_implILb1ES3_PS9_SC_S9_12reduce_tupleIifEEE10hipError_tPvRmT1_T2_T3_mT4_P12ihipStream_tbEUlT_E1_NS1_11comp_targetILNS1_3genE2ELNS1_11target_archE906ELNS1_3gpuE6ELNS1_3repE0EEENS1_30default_config_static_selectorELNS0_4arch9wavefront6targetE0EEEvSI_.has_recursion, 0
	.set _ZN7rocprim17ROCPRIM_400000_NS6detail17trampoline_kernelINS0_14default_configENS1_22reduce_config_selectorIN6thrust23THRUST_200600_302600_NS5tupleIbffNS6_9null_typeES8_S8_S8_S8_S8_S8_EEEEZNS1_11reduce_implILb1ES3_PS9_SC_S9_12reduce_tupleIifEEE10hipError_tPvRmT1_T2_T3_mT4_P12ihipStream_tbEUlT_E1_NS1_11comp_targetILNS1_3genE2ELNS1_11target_archE906ELNS1_3gpuE6ELNS1_3repE0EEENS1_30default_config_static_selectorELNS0_4arch9wavefront6targetE0EEEvSI_.has_indirect_call, 0
	.section	.AMDGPU.csdata,"",@progbits
; Kernel info:
; codeLenInByte = 0
; TotalNumSgprs: 0
; NumVgprs: 0
; ScratchSize: 0
; MemoryBound: 0
; FloatMode: 240
; IeeeMode: 1
; LDSByteSize: 0 bytes/workgroup (compile time only)
; SGPRBlocks: 0
; VGPRBlocks: 0
; NumSGPRsForWavesPerEU: 1
; NumVGPRsForWavesPerEU: 1
; Occupancy: 16
; WaveLimiterHint : 0
; COMPUTE_PGM_RSRC2:SCRATCH_EN: 0
; COMPUTE_PGM_RSRC2:USER_SGPR: 6
; COMPUTE_PGM_RSRC2:TRAP_HANDLER: 0
; COMPUTE_PGM_RSRC2:TGID_X_EN: 1
; COMPUTE_PGM_RSRC2:TGID_Y_EN: 0
; COMPUTE_PGM_RSRC2:TGID_Z_EN: 0
; COMPUTE_PGM_RSRC2:TIDIG_COMP_CNT: 0
	.section	.text._ZN7rocprim17ROCPRIM_400000_NS6detail17trampoline_kernelINS0_14default_configENS1_22reduce_config_selectorIN6thrust23THRUST_200600_302600_NS5tupleIbffNS6_9null_typeES8_S8_S8_S8_S8_S8_EEEEZNS1_11reduce_implILb1ES3_PS9_SC_S9_12reduce_tupleIifEEE10hipError_tPvRmT1_T2_T3_mT4_P12ihipStream_tbEUlT_E1_NS1_11comp_targetILNS1_3genE10ELNS1_11target_archE1201ELNS1_3gpuE5ELNS1_3repE0EEENS1_30default_config_static_selectorELNS0_4arch9wavefront6targetE0EEEvSI_,"axG",@progbits,_ZN7rocprim17ROCPRIM_400000_NS6detail17trampoline_kernelINS0_14default_configENS1_22reduce_config_selectorIN6thrust23THRUST_200600_302600_NS5tupleIbffNS6_9null_typeES8_S8_S8_S8_S8_S8_EEEEZNS1_11reduce_implILb1ES3_PS9_SC_S9_12reduce_tupleIifEEE10hipError_tPvRmT1_T2_T3_mT4_P12ihipStream_tbEUlT_E1_NS1_11comp_targetILNS1_3genE10ELNS1_11target_archE1201ELNS1_3gpuE5ELNS1_3repE0EEENS1_30default_config_static_selectorELNS0_4arch9wavefront6targetE0EEEvSI_,comdat
	.protected	_ZN7rocprim17ROCPRIM_400000_NS6detail17trampoline_kernelINS0_14default_configENS1_22reduce_config_selectorIN6thrust23THRUST_200600_302600_NS5tupleIbffNS6_9null_typeES8_S8_S8_S8_S8_S8_EEEEZNS1_11reduce_implILb1ES3_PS9_SC_S9_12reduce_tupleIifEEE10hipError_tPvRmT1_T2_T3_mT4_P12ihipStream_tbEUlT_E1_NS1_11comp_targetILNS1_3genE10ELNS1_11target_archE1201ELNS1_3gpuE5ELNS1_3repE0EEENS1_30default_config_static_selectorELNS0_4arch9wavefront6targetE0EEEvSI_ ; -- Begin function _ZN7rocprim17ROCPRIM_400000_NS6detail17trampoline_kernelINS0_14default_configENS1_22reduce_config_selectorIN6thrust23THRUST_200600_302600_NS5tupleIbffNS6_9null_typeES8_S8_S8_S8_S8_S8_EEEEZNS1_11reduce_implILb1ES3_PS9_SC_S9_12reduce_tupleIifEEE10hipError_tPvRmT1_T2_T3_mT4_P12ihipStream_tbEUlT_E1_NS1_11comp_targetILNS1_3genE10ELNS1_11target_archE1201ELNS1_3gpuE5ELNS1_3repE0EEENS1_30default_config_static_selectorELNS0_4arch9wavefront6targetE0EEEvSI_
	.globl	_ZN7rocprim17ROCPRIM_400000_NS6detail17trampoline_kernelINS0_14default_configENS1_22reduce_config_selectorIN6thrust23THRUST_200600_302600_NS5tupleIbffNS6_9null_typeES8_S8_S8_S8_S8_S8_EEEEZNS1_11reduce_implILb1ES3_PS9_SC_S9_12reduce_tupleIifEEE10hipError_tPvRmT1_T2_T3_mT4_P12ihipStream_tbEUlT_E1_NS1_11comp_targetILNS1_3genE10ELNS1_11target_archE1201ELNS1_3gpuE5ELNS1_3repE0EEENS1_30default_config_static_selectorELNS0_4arch9wavefront6targetE0EEEvSI_
	.p2align	8
	.type	_ZN7rocprim17ROCPRIM_400000_NS6detail17trampoline_kernelINS0_14default_configENS1_22reduce_config_selectorIN6thrust23THRUST_200600_302600_NS5tupleIbffNS6_9null_typeES8_S8_S8_S8_S8_S8_EEEEZNS1_11reduce_implILb1ES3_PS9_SC_S9_12reduce_tupleIifEEE10hipError_tPvRmT1_T2_T3_mT4_P12ihipStream_tbEUlT_E1_NS1_11comp_targetILNS1_3genE10ELNS1_11target_archE1201ELNS1_3gpuE5ELNS1_3repE0EEENS1_30default_config_static_selectorELNS0_4arch9wavefront6targetE0EEEvSI_,@function
_ZN7rocprim17ROCPRIM_400000_NS6detail17trampoline_kernelINS0_14default_configENS1_22reduce_config_selectorIN6thrust23THRUST_200600_302600_NS5tupleIbffNS6_9null_typeES8_S8_S8_S8_S8_S8_EEEEZNS1_11reduce_implILb1ES3_PS9_SC_S9_12reduce_tupleIifEEE10hipError_tPvRmT1_T2_T3_mT4_P12ihipStream_tbEUlT_E1_NS1_11comp_targetILNS1_3genE10ELNS1_11target_archE1201ELNS1_3gpuE5ELNS1_3repE0EEENS1_30default_config_static_selectorELNS0_4arch9wavefront6targetE0EEEvSI_: ; @_ZN7rocprim17ROCPRIM_400000_NS6detail17trampoline_kernelINS0_14default_configENS1_22reduce_config_selectorIN6thrust23THRUST_200600_302600_NS5tupleIbffNS6_9null_typeES8_S8_S8_S8_S8_S8_EEEEZNS1_11reduce_implILb1ES3_PS9_SC_S9_12reduce_tupleIifEEE10hipError_tPvRmT1_T2_T3_mT4_P12ihipStream_tbEUlT_E1_NS1_11comp_targetILNS1_3genE10ELNS1_11target_archE1201ELNS1_3gpuE5ELNS1_3repE0EEENS1_30default_config_static_selectorELNS0_4arch9wavefront6targetE0EEEvSI_
; %bb.0:
	.section	.rodata,"a",@progbits
	.p2align	6, 0x0
	.amdhsa_kernel _ZN7rocprim17ROCPRIM_400000_NS6detail17trampoline_kernelINS0_14default_configENS1_22reduce_config_selectorIN6thrust23THRUST_200600_302600_NS5tupleIbffNS6_9null_typeES8_S8_S8_S8_S8_S8_EEEEZNS1_11reduce_implILb1ES3_PS9_SC_S9_12reduce_tupleIifEEE10hipError_tPvRmT1_T2_T3_mT4_P12ihipStream_tbEUlT_E1_NS1_11comp_targetILNS1_3genE10ELNS1_11target_archE1201ELNS1_3gpuE5ELNS1_3repE0EEENS1_30default_config_static_selectorELNS0_4arch9wavefront6targetE0EEEvSI_
		.amdhsa_group_segment_fixed_size 0
		.amdhsa_private_segment_fixed_size 0
		.amdhsa_kernarg_size 48
		.amdhsa_user_sgpr_count 6
		.amdhsa_user_sgpr_private_segment_buffer 1
		.amdhsa_user_sgpr_dispatch_ptr 0
		.amdhsa_user_sgpr_queue_ptr 0
		.amdhsa_user_sgpr_kernarg_segment_ptr 1
		.amdhsa_user_sgpr_dispatch_id 0
		.amdhsa_user_sgpr_flat_scratch_init 0
		.amdhsa_user_sgpr_private_segment_size 0
		.amdhsa_wavefront_size32 1
		.amdhsa_uses_dynamic_stack 0
		.amdhsa_system_sgpr_private_segment_wavefront_offset 0
		.amdhsa_system_sgpr_workgroup_id_x 1
		.amdhsa_system_sgpr_workgroup_id_y 0
		.amdhsa_system_sgpr_workgroup_id_z 0
		.amdhsa_system_sgpr_workgroup_info 0
		.amdhsa_system_vgpr_workitem_id 0
		.amdhsa_next_free_vgpr 1
		.amdhsa_next_free_sgpr 1
		.amdhsa_reserve_vcc 0
		.amdhsa_reserve_flat_scratch 0
		.amdhsa_float_round_mode_32 0
		.amdhsa_float_round_mode_16_64 0
		.amdhsa_float_denorm_mode_32 3
		.amdhsa_float_denorm_mode_16_64 3
		.amdhsa_dx10_clamp 1
		.amdhsa_ieee_mode 1
		.amdhsa_fp16_overflow 0
		.amdhsa_workgroup_processor_mode 1
		.amdhsa_memory_ordered 1
		.amdhsa_forward_progress 1
		.amdhsa_shared_vgpr_count 0
		.amdhsa_exception_fp_ieee_invalid_op 0
		.amdhsa_exception_fp_denorm_src 0
		.amdhsa_exception_fp_ieee_div_zero 0
		.amdhsa_exception_fp_ieee_overflow 0
		.amdhsa_exception_fp_ieee_underflow 0
		.amdhsa_exception_fp_ieee_inexact 0
		.amdhsa_exception_int_div_zero 0
	.end_amdhsa_kernel
	.section	.text._ZN7rocprim17ROCPRIM_400000_NS6detail17trampoline_kernelINS0_14default_configENS1_22reduce_config_selectorIN6thrust23THRUST_200600_302600_NS5tupleIbffNS6_9null_typeES8_S8_S8_S8_S8_S8_EEEEZNS1_11reduce_implILb1ES3_PS9_SC_S9_12reduce_tupleIifEEE10hipError_tPvRmT1_T2_T3_mT4_P12ihipStream_tbEUlT_E1_NS1_11comp_targetILNS1_3genE10ELNS1_11target_archE1201ELNS1_3gpuE5ELNS1_3repE0EEENS1_30default_config_static_selectorELNS0_4arch9wavefront6targetE0EEEvSI_,"axG",@progbits,_ZN7rocprim17ROCPRIM_400000_NS6detail17trampoline_kernelINS0_14default_configENS1_22reduce_config_selectorIN6thrust23THRUST_200600_302600_NS5tupleIbffNS6_9null_typeES8_S8_S8_S8_S8_S8_EEEEZNS1_11reduce_implILb1ES3_PS9_SC_S9_12reduce_tupleIifEEE10hipError_tPvRmT1_T2_T3_mT4_P12ihipStream_tbEUlT_E1_NS1_11comp_targetILNS1_3genE10ELNS1_11target_archE1201ELNS1_3gpuE5ELNS1_3repE0EEENS1_30default_config_static_selectorELNS0_4arch9wavefront6targetE0EEEvSI_,comdat
.Lfunc_end15:
	.size	_ZN7rocprim17ROCPRIM_400000_NS6detail17trampoline_kernelINS0_14default_configENS1_22reduce_config_selectorIN6thrust23THRUST_200600_302600_NS5tupleIbffNS6_9null_typeES8_S8_S8_S8_S8_S8_EEEEZNS1_11reduce_implILb1ES3_PS9_SC_S9_12reduce_tupleIifEEE10hipError_tPvRmT1_T2_T3_mT4_P12ihipStream_tbEUlT_E1_NS1_11comp_targetILNS1_3genE10ELNS1_11target_archE1201ELNS1_3gpuE5ELNS1_3repE0EEENS1_30default_config_static_selectorELNS0_4arch9wavefront6targetE0EEEvSI_, .Lfunc_end15-_ZN7rocprim17ROCPRIM_400000_NS6detail17trampoline_kernelINS0_14default_configENS1_22reduce_config_selectorIN6thrust23THRUST_200600_302600_NS5tupleIbffNS6_9null_typeES8_S8_S8_S8_S8_S8_EEEEZNS1_11reduce_implILb1ES3_PS9_SC_S9_12reduce_tupleIifEEE10hipError_tPvRmT1_T2_T3_mT4_P12ihipStream_tbEUlT_E1_NS1_11comp_targetILNS1_3genE10ELNS1_11target_archE1201ELNS1_3gpuE5ELNS1_3repE0EEENS1_30default_config_static_selectorELNS0_4arch9wavefront6targetE0EEEvSI_
                                        ; -- End function
	.set _ZN7rocprim17ROCPRIM_400000_NS6detail17trampoline_kernelINS0_14default_configENS1_22reduce_config_selectorIN6thrust23THRUST_200600_302600_NS5tupleIbffNS6_9null_typeES8_S8_S8_S8_S8_S8_EEEEZNS1_11reduce_implILb1ES3_PS9_SC_S9_12reduce_tupleIifEEE10hipError_tPvRmT1_T2_T3_mT4_P12ihipStream_tbEUlT_E1_NS1_11comp_targetILNS1_3genE10ELNS1_11target_archE1201ELNS1_3gpuE5ELNS1_3repE0EEENS1_30default_config_static_selectorELNS0_4arch9wavefront6targetE0EEEvSI_.num_vgpr, 0
	.set _ZN7rocprim17ROCPRIM_400000_NS6detail17trampoline_kernelINS0_14default_configENS1_22reduce_config_selectorIN6thrust23THRUST_200600_302600_NS5tupleIbffNS6_9null_typeES8_S8_S8_S8_S8_S8_EEEEZNS1_11reduce_implILb1ES3_PS9_SC_S9_12reduce_tupleIifEEE10hipError_tPvRmT1_T2_T3_mT4_P12ihipStream_tbEUlT_E1_NS1_11comp_targetILNS1_3genE10ELNS1_11target_archE1201ELNS1_3gpuE5ELNS1_3repE0EEENS1_30default_config_static_selectorELNS0_4arch9wavefront6targetE0EEEvSI_.num_agpr, 0
	.set _ZN7rocprim17ROCPRIM_400000_NS6detail17trampoline_kernelINS0_14default_configENS1_22reduce_config_selectorIN6thrust23THRUST_200600_302600_NS5tupleIbffNS6_9null_typeES8_S8_S8_S8_S8_S8_EEEEZNS1_11reduce_implILb1ES3_PS9_SC_S9_12reduce_tupleIifEEE10hipError_tPvRmT1_T2_T3_mT4_P12ihipStream_tbEUlT_E1_NS1_11comp_targetILNS1_3genE10ELNS1_11target_archE1201ELNS1_3gpuE5ELNS1_3repE0EEENS1_30default_config_static_selectorELNS0_4arch9wavefront6targetE0EEEvSI_.numbered_sgpr, 0
	.set _ZN7rocprim17ROCPRIM_400000_NS6detail17trampoline_kernelINS0_14default_configENS1_22reduce_config_selectorIN6thrust23THRUST_200600_302600_NS5tupleIbffNS6_9null_typeES8_S8_S8_S8_S8_S8_EEEEZNS1_11reduce_implILb1ES3_PS9_SC_S9_12reduce_tupleIifEEE10hipError_tPvRmT1_T2_T3_mT4_P12ihipStream_tbEUlT_E1_NS1_11comp_targetILNS1_3genE10ELNS1_11target_archE1201ELNS1_3gpuE5ELNS1_3repE0EEENS1_30default_config_static_selectorELNS0_4arch9wavefront6targetE0EEEvSI_.num_named_barrier, 0
	.set _ZN7rocprim17ROCPRIM_400000_NS6detail17trampoline_kernelINS0_14default_configENS1_22reduce_config_selectorIN6thrust23THRUST_200600_302600_NS5tupleIbffNS6_9null_typeES8_S8_S8_S8_S8_S8_EEEEZNS1_11reduce_implILb1ES3_PS9_SC_S9_12reduce_tupleIifEEE10hipError_tPvRmT1_T2_T3_mT4_P12ihipStream_tbEUlT_E1_NS1_11comp_targetILNS1_3genE10ELNS1_11target_archE1201ELNS1_3gpuE5ELNS1_3repE0EEENS1_30default_config_static_selectorELNS0_4arch9wavefront6targetE0EEEvSI_.private_seg_size, 0
	.set _ZN7rocprim17ROCPRIM_400000_NS6detail17trampoline_kernelINS0_14default_configENS1_22reduce_config_selectorIN6thrust23THRUST_200600_302600_NS5tupleIbffNS6_9null_typeES8_S8_S8_S8_S8_S8_EEEEZNS1_11reduce_implILb1ES3_PS9_SC_S9_12reduce_tupleIifEEE10hipError_tPvRmT1_T2_T3_mT4_P12ihipStream_tbEUlT_E1_NS1_11comp_targetILNS1_3genE10ELNS1_11target_archE1201ELNS1_3gpuE5ELNS1_3repE0EEENS1_30default_config_static_selectorELNS0_4arch9wavefront6targetE0EEEvSI_.uses_vcc, 0
	.set _ZN7rocprim17ROCPRIM_400000_NS6detail17trampoline_kernelINS0_14default_configENS1_22reduce_config_selectorIN6thrust23THRUST_200600_302600_NS5tupleIbffNS6_9null_typeES8_S8_S8_S8_S8_S8_EEEEZNS1_11reduce_implILb1ES3_PS9_SC_S9_12reduce_tupleIifEEE10hipError_tPvRmT1_T2_T3_mT4_P12ihipStream_tbEUlT_E1_NS1_11comp_targetILNS1_3genE10ELNS1_11target_archE1201ELNS1_3gpuE5ELNS1_3repE0EEENS1_30default_config_static_selectorELNS0_4arch9wavefront6targetE0EEEvSI_.uses_flat_scratch, 0
	.set _ZN7rocprim17ROCPRIM_400000_NS6detail17trampoline_kernelINS0_14default_configENS1_22reduce_config_selectorIN6thrust23THRUST_200600_302600_NS5tupleIbffNS6_9null_typeES8_S8_S8_S8_S8_S8_EEEEZNS1_11reduce_implILb1ES3_PS9_SC_S9_12reduce_tupleIifEEE10hipError_tPvRmT1_T2_T3_mT4_P12ihipStream_tbEUlT_E1_NS1_11comp_targetILNS1_3genE10ELNS1_11target_archE1201ELNS1_3gpuE5ELNS1_3repE0EEENS1_30default_config_static_selectorELNS0_4arch9wavefront6targetE0EEEvSI_.has_dyn_sized_stack, 0
	.set _ZN7rocprim17ROCPRIM_400000_NS6detail17trampoline_kernelINS0_14default_configENS1_22reduce_config_selectorIN6thrust23THRUST_200600_302600_NS5tupleIbffNS6_9null_typeES8_S8_S8_S8_S8_S8_EEEEZNS1_11reduce_implILb1ES3_PS9_SC_S9_12reduce_tupleIifEEE10hipError_tPvRmT1_T2_T3_mT4_P12ihipStream_tbEUlT_E1_NS1_11comp_targetILNS1_3genE10ELNS1_11target_archE1201ELNS1_3gpuE5ELNS1_3repE0EEENS1_30default_config_static_selectorELNS0_4arch9wavefront6targetE0EEEvSI_.has_recursion, 0
	.set _ZN7rocprim17ROCPRIM_400000_NS6detail17trampoline_kernelINS0_14default_configENS1_22reduce_config_selectorIN6thrust23THRUST_200600_302600_NS5tupleIbffNS6_9null_typeES8_S8_S8_S8_S8_S8_EEEEZNS1_11reduce_implILb1ES3_PS9_SC_S9_12reduce_tupleIifEEE10hipError_tPvRmT1_T2_T3_mT4_P12ihipStream_tbEUlT_E1_NS1_11comp_targetILNS1_3genE10ELNS1_11target_archE1201ELNS1_3gpuE5ELNS1_3repE0EEENS1_30default_config_static_selectorELNS0_4arch9wavefront6targetE0EEEvSI_.has_indirect_call, 0
	.section	.AMDGPU.csdata,"",@progbits
; Kernel info:
; codeLenInByte = 0
; TotalNumSgprs: 0
; NumVgprs: 0
; ScratchSize: 0
; MemoryBound: 0
; FloatMode: 240
; IeeeMode: 1
; LDSByteSize: 0 bytes/workgroup (compile time only)
; SGPRBlocks: 0
; VGPRBlocks: 0
; NumSGPRsForWavesPerEU: 1
; NumVGPRsForWavesPerEU: 1
; Occupancy: 16
; WaveLimiterHint : 0
; COMPUTE_PGM_RSRC2:SCRATCH_EN: 0
; COMPUTE_PGM_RSRC2:USER_SGPR: 6
; COMPUTE_PGM_RSRC2:TRAP_HANDLER: 0
; COMPUTE_PGM_RSRC2:TGID_X_EN: 1
; COMPUTE_PGM_RSRC2:TGID_Y_EN: 0
; COMPUTE_PGM_RSRC2:TGID_Z_EN: 0
; COMPUTE_PGM_RSRC2:TIDIG_COMP_CNT: 0
	.section	.text._ZN7rocprim17ROCPRIM_400000_NS6detail17trampoline_kernelINS0_14default_configENS1_22reduce_config_selectorIN6thrust23THRUST_200600_302600_NS5tupleIbffNS6_9null_typeES8_S8_S8_S8_S8_S8_EEEEZNS1_11reduce_implILb1ES3_PS9_SC_S9_12reduce_tupleIifEEE10hipError_tPvRmT1_T2_T3_mT4_P12ihipStream_tbEUlT_E1_NS1_11comp_targetILNS1_3genE10ELNS1_11target_archE1200ELNS1_3gpuE4ELNS1_3repE0EEENS1_30default_config_static_selectorELNS0_4arch9wavefront6targetE0EEEvSI_,"axG",@progbits,_ZN7rocprim17ROCPRIM_400000_NS6detail17trampoline_kernelINS0_14default_configENS1_22reduce_config_selectorIN6thrust23THRUST_200600_302600_NS5tupleIbffNS6_9null_typeES8_S8_S8_S8_S8_S8_EEEEZNS1_11reduce_implILb1ES3_PS9_SC_S9_12reduce_tupleIifEEE10hipError_tPvRmT1_T2_T3_mT4_P12ihipStream_tbEUlT_E1_NS1_11comp_targetILNS1_3genE10ELNS1_11target_archE1200ELNS1_3gpuE4ELNS1_3repE0EEENS1_30default_config_static_selectorELNS0_4arch9wavefront6targetE0EEEvSI_,comdat
	.protected	_ZN7rocprim17ROCPRIM_400000_NS6detail17trampoline_kernelINS0_14default_configENS1_22reduce_config_selectorIN6thrust23THRUST_200600_302600_NS5tupleIbffNS6_9null_typeES8_S8_S8_S8_S8_S8_EEEEZNS1_11reduce_implILb1ES3_PS9_SC_S9_12reduce_tupleIifEEE10hipError_tPvRmT1_T2_T3_mT4_P12ihipStream_tbEUlT_E1_NS1_11comp_targetILNS1_3genE10ELNS1_11target_archE1200ELNS1_3gpuE4ELNS1_3repE0EEENS1_30default_config_static_selectorELNS0_4arch9wavefront6targetE0EEEvSI_ ; -- Begin function _ZN7rocprim17ROCPRIM_400000_NS6detail17trampoline_kernelINS0_14default_configENS1_22reduce_config_selectorIN6thrust23THRUST_200600_302600_NS5tupleIbffNS6_9null_typeES8_S8_S8_S8_S8_S8_EEEEZNS1_11reduce_implILb1ES3_PS9_SC_S9_12reduce_tupleIifEEE10hipError_tPvRmT1_T2_T3_mT4_P12ihipStream_tbEUlT_E1_NS1_11comp_targetILNS1_3genE10ELNS1_11target_archE1200ELNS1_3gpuE4ELNS1_3repE0EEENS1_30default_config_static_selectorELNS0_4arch9wavefront6targetE0EEEvSI_
	.globl	_ZN7rocprim17ROCPRIM_400000_NS6detail17trampoline_kernelINS0_14default_configENS1_22reduce_config_selectorIN6thrust23THRUST_200600_302600_NS5tupleIbffNS6_9null_typeES8_S8_S8_S8_S8_S8_EEEEZNS1_11reduce_implILb1ES3_PS9_SC_S9_12reduce_tupleIifEEE10hipError_tPvRmT1_T2_T3_mT4_P12ihipStream_tbEUlT_E1_NS1_11comp_targetILNS1_3genE10ELNS1_11target_archE1200ELNS1_3gpuE4ELNS1_3repE0EEENS1_30default_config_static_selectorELNS0_4arch9wavefront6targetE0EEEvSI_
	.p2align	8
	.type	_ZN7rocprim17ROCPRIM_400000_NS6detail17trampoline_kernelINS0_14default_configENS1_22reduce_config_selectorIN6thrust23THRUST_200600_302600_NS5tupleIbffNS6_9null_typeES8_S8_S8_S8_S8_S8_EEEEZNS1_11reduce_implILb1ES3_PS9_SC_S9_12reduce_tupleIifEEE10hipError_tPvRmT1_T2_T3_mT4_P12ihipStream_tbEUlT_E1_NS1_11comp_targetILNS1_3genE10ELNS1_11target_archE1200ELNS1_3gpuE4ELNS1_3repE0EEENS1_30default_config_static_selectorELNS0_4arch9wavefront6targetE0EEEvSI_,@function
_ZN7rocprim17ROCPRIM_400000_NS6detail17trampoline_kernelINS0_14default_configENS1_22reduce_config_selectorIN6thrust23THRUST_200600_302600_NS5tupleIbffNS6_9null_typeES8_S8_S8_S8_S8_S8_EEEEZNS1_11reduce_implILb1ES3_PS9_SC_S9_12reduce_tupleIifEEE10hipError_tPvRmT1_T2_T3_mT4_P12ihipStream_tbEUlT_E1_NS1_11comp_targetILNS1_3genE10ELNS1_11target_archE1200ELNS1_3gpuE4ELNS1_3repE0EEENS1_30default_config_static_selectorELNS0_4arch9wavefront6targetE0EEEvSI_: ; @_ZN7rocprim17ROCPRIM_400000_NS6detail17trampoline_kernelINS0_14default_configENS1_22reduce_config_selectorIN6thrust23THRUST_200600_302600_NS5tupleIbffNS6_9null_typeES8_S8_S8_S8_S8_S8_EEEEZNS1_11reduce_implILb1ES3_PS9_SC_S9_12reduce_tupleIifEEE10hipError_tPvRmT1_T2_T3_mT4_P12ihipStream_tbEUlT_E1_NS1_11comp_targetILNS1_3genE10ELNS1_11target_archE1200ELNS1_3gpuE4ELNS1_3repE0EEENS1_30default_config_static_selectorELNS0_4arch9wavefront6targetE0EEEvSI_
; %bb.0:
	.section	.rodata,"a",@progbits
	.p2align	6, 0x0
	.amdhsa_kernel _ZN7rocprim17ROCPRIM_400000_NS6detail17trampoline_kernelINS0_14default_configENS1_22reduce_config_selectorIN6thrust23THRUST_200600_302600_NS5tupleIbffNS6_9null_typeES8_S8_S8_S8_S8_S8_EEEEZNS1_11reduce_implILb1ES3_PS9_SC_S9_12reduce_tupleIifEEE10hipError_tPvRmT1_T2_T3_mT4_P12ihipStream_tbEUlT_E1_NS1_11comp_targetILNS1_3genE10ELNS1_11target_archE1200ELNS1_3gpuE4ELNS1_3repE0EEENS1_30default_config_static_selectorELNS0_4arch9wavefront6targetE0EEEvSI_
		.amdhsa_group_segment_fixed_size 0
		.amdhsa_private_segment_fixed_size 0
		.amdhsa_kernarg_size 48
		.amdhsa_user_sgpr_count 6
		.amdhsa_user_sgpr_private_segment_buffer 1
		.amdhsa_user_sgpr_dispatch_ptr 0
		.amdhsa_user_sgpr_queue_ptr 0
		.amdhsa_user_sgpr_kernarg_segment_ptr 1
		.amdhsa_user_sgpr_dispatch_id 0
		.amdhsa_user_sgpr_flat_scratch_init 0
		.amdhsa_user_sgpr_private_segment_size 0
		.amdhsa_wavefront_size32 1
		.amdhsa_uses_dynamic_stack 0
		.amdhsa_system_sgpr_private_segment_wavefront_offset 0
		.amdhsa_system_sgpr_workgroup_id_x 1
		.amdhsa_system_sgpr_workgroup_id_y 0
		.amdhsa_system_sgpr_workgroup_id_z 0
		.amdhsa_system_sgpr_workgroup_info 0
		.amdhsa_system_vgpr_workitem_id 0
		.amdhsa_next_free_vgpr 1
		.amdhsa_next_free_sgpr 1
		.amdhsa_reserve_vcc 0
		.amdhsa_reserve_flat_scratch 0
		.amdhsa_float_round_mode_32 0
		.amdhsa_float_round_mode_16_64 0
		.amdhsa_float_denorm_mode_32 3
		.amdhsa_float_denorm_mode_16_64 3
		.amdhsa_dx10_clamp 1
		.amdhsa_ieee_mode 1
		.amdhsa_fp16_overflow 0
		.amdhsa_workgroup_processor_mode 1
		.amdhsa_memory_ordered 1
		.amdhsa_forward_progress 1
		.amdhsa_shared_vgpr_count 0
		.amdhsa_exception_fp_ieee_invalid_op 0
		.amdhsa_exception_fp_denorm_src 0
		.amdhsa_exception_fp_ieee_div_zero 0
		.amdhsa_exception_fp_ieee_overflow 0
		.amdhsa_exception_fp_ieee_underflow 0
		.amdhsa_exception_fp_ieee_inexact 0
		.amdhsa_exception_int_div_zero 0
	.end_amdhsa_kernel
	.section	.text._ZN7rocprim17ROCPRIM_400000_NS6detail17trampoline_kernelINS0_14default_configENS1_22reduce_config_selectorIN6thrust23THRUST_200600_302600_NS5tupleIbffNS6_9null_typeES8_S8_S8_S8_S8_S8_EEEEZNS1_11reduce_implILb1ES3_PS9_SC_S9_12reduce_tupleIifEEE10hipError_tPvRmT1_T2_T3_mT4_P12ihipStream_tbEUlT_E1_NS1_11comp_targetILNS1_3genE10ELNS1_11target_archE1200ELNS1_3gpuE4ELNS1_3repE0EEENS1_30default_config_static_selectorELNS0_4arch9wavefront6targetE0EEEvSI_,"axG",@progbits,_ZN7rocprim17ROCPRIM_400000_NS6detail17trampoline_kernelINS0_14default_configENS1_22reduce_config_selectorIN6thrust23THRUST_200600_302600_NS5tupleIbffNS6_9null_typeES8_S8_S8_S8_S8_S8_EEEEZNS1_11reduce_implILb1ES3_PS9_SC_S9_12reduce_tupleIifEEE10hipError_tPvRmT1_T2_T3_mT4_P12ihipStream_tbEUlT_E1_NS1_11comp_targetILNS1_3genE10ELNS1_11target_archE1200ELNS1_3gpuE4ELNS1_3repE0EEENS1_30default_config_static_selectorELNS0_4arch9wavefront6targetE0EEEvSI_,comdat
.Lfunc_end16:
	.size	_ZN7rocprim17ROCPRIM_400000_NS6detail17trampoline_kernelINS0_14default_configENS1_22reduce_config_selectorIN6thrust23THRUST_200600_302600_NS5tupleIbffNS6_9null_typeES8_S8_S8_S8_S8_S8_EEEEZNS1_11reduce_implILb1ES3_PS9_SC_S9_12reduce_tupleIifEEE10hipError_tPvRmT1_T2_T3_mT4_P12ihipStream_tbEUlT_E1_NS1_11comp_targetILNS1_3genE10ELNS1_11target_archE1200ELNS1_3gpuE4ELNS1_3repE0EEENS1_30default_config_static_selectorELNS0_4arch9wavefront6targetE0EEEvSI_, .Lfunc_end16-_ZN7rocprim17ROCPRIM_400000_NS6detail17trampoline_kernelINS0_14default_configENS1_22reduce_config_selectorIN6thrust23THRUST_200600_302600_NS5tupleIbffNS6_9null_typeES8_S8_S8_S8_S8_S8_EEEEZNS1_11reduce_implILb1ES3_PS9_SC_S9_12reduce_tupleIifEEE10hipError_tPvRmT1_T2_T3_mT4_P12ihipStream_tbEUlT_E1_NS1_11comp_targetILNS1_3genE10ELNS1_11target_archE1200ELNS1_3gpuE4ELNS1_3repE0EEENS1_30default_config_static_selectorELNS0_4arch9wavefront6targetE0EEEvSI_
                                        ; -- End function
	.set _ZN7rocprim17ROCPRIM_400000_NS6detail17trampoline_kernelINS0_14default_configENS1_22reduce_config_selectorIN6thrust23THRUST_200600_302600_NS5tupleIbffNS6_9null_typeES8_S8_S8_S8_S8_S8_EEEEZNS1_11reduce_implILb1ES3_PS9_SC_S9_12reduce_tupleIifEEE10hipError_tPvRmT1_T2_T3_mT4_P12ihipStream_tbEUlT_E1_NS1_11comp_targetILNS1_3genE10ELNS1_11target_archE1200ELNS1_3gpuE4ELNS1_3repE0EEENS1_30default_config_static_selectorELNS0_4arch9wavefront6targetE0EEEvSI_.num_vgpr, 0
	.set _ZN7rocprim17ROCPRIM_400000_NS6detail17trampoline_kernelINS0_14default_configENS1_22reduce_config_selectorIN6thrust23THRUST_200600_302600_NS5tupleIbffNS6_9null_typeES8_S8_S8_S8_S8_S8_EEEEZNS1_11reduce_implILb1ES3_PS9_SC_S9_12reduce_tupleIifEEE10hipError_tPvRmT1_T2_T3_mT4_P12ihipStream_tbEUlT_E1_NS1_11comp_targetILNS1_3genE10ELNS1_11target_archE1200ELNS1_3gpuE4ELNS1_3repE0EEENS1_30default_config_static_selectorELNS0_4arch9wavefront6targetE0EEEvSI_.num_agpr, 0
	.set _ZN7rocprim17ROCPRIM_400000_NS6detail17trampoline_kernelINS0_14default_configENS1_22reduce_config_selectorIN6thrust23THRUST_200600_302600_NS5tupleIbffNS6_9null_typeES8_S8_S8_S8_S8_S8_EEEEZNS1_11reduce_implILb1ES3_PS9_SC_S9_12reduce_tupleIifEEE10hipError_tPvRmT1_T2_T3_mT4_P12ihipStream_tbEUlT_E1_NS1_11comp_targetILNS1_3genE10ELNS1_11target_archE1200ELNS1_3gpuE4ELNS1_3repE0EEENS1_30default_config_static_selectorELNS0_4arch9wavefront6targetE0EEEvSI_.numbered_sgpr, 0
	.set _ZN7rocprim17ROCPRIM_400000_NS6detail17trampoline_kernelINS0_14default_configENS1_22reduce_config_selectorIN6thrust23THRUST_200600_302600_NS5tupleIbffNS6_9null_typeES8_S8_S8_S8_S8_S8_EEEEZNS1_11reduce_implILb1ES3_PS9_SC_S9_12reduce_tupleIifEEE10hipError_tPvRmT1_T2_T3_mT4_P12ihipStream_tbEUlT_E1_NS1_11comp_targetILNS1_3genE10ELNS1_11target_archE1200ELNS1_3gpuE4ELNS1_3repE0EEENS1_30default_config_static_selectorELNS0_4arch9wavefront6targetE0EEEvSI_.num_named_barrier, 0
	.set _ZN7rocprim17ROCPRIM_400000_NS6detail17trampoline_kernelINS0_14default_configENS1_22reduce_config_selectorIN6thrust23THRUST_200600_302600_NS5tupleIbffNS6_9null_typeES8_S8_S8_S8_S8_S8_EEEEZNS1_11reduce_implILb1ES3_PS9_SC_S9_12reduce_tupleIifEEE10hipError_tPvRmT1_T2_T3_mT4_P12ihipStream_tbEUlT_E1_NS1_11comp_targetILNS1_3genE10ELNS1_11target_archE1200ELNS1_3gpuE4ELNS1_3repE0EEENS1_30default_config_static_selectorELNS0_4arch9wavefront6targetE0EEEvSI_.private_seg_size, 0
	.set _ZN7rocprim17ROCPRIM_400000_NS6detail17trampoline_kernelINS0_14default_configENS1_22reduce_config_selectorIN6thrust23THRUST_200600_302600_NS5tupleIbffNS6_9null_typeES8_S8_S8_S8_S8_S8_EEEEZNS1_11reduce_implILb1ES3_PS9_SC_S9_12reduce_tupleIifEEE10hipError_tPvRmT1_T2_T3_mT4_P12ihipStream_tbEUlT_E1_NS1_11comp_targetILNS1_3genE10ELNS1_11target_archE1200ELNS1_3gpuE4ELNS1_3repE0EEENS1_30default_config_static_selectorELNS0_4arch9wavefront6targetE0EEEvSI_.uses_vcc, 0
	.set _ZN7rocprim17ROCPRIM_400000_NS6detail17trampoline_kernelINS0_14default_configENS1_22reduce_config_selectorIN6thrust23THRUST_200600_302600_NS5tupleIbffNS6_9null_typeES8_S8_S8_S8_S8_S8_EEEEZNS1_11reduce_implILb1ES3_PS9_SC_S9_12reduce_tupleIifEEE10hipError_tPvRmT1_T2_T3_mT4_P12ihipStream_tbEUlT_E1_NS1_11comp_targetILNS1_3genE10ELNS1_11target_archE1200ELNS1_3gpuE4ELNS1_3repE0EEENS1_30default_config_static_selectorELNS0_4arch9wavefront6targetE0EEEvSI_.uses_flat_scratch, 0
	.set _ZN7rocprim17ROCPRIM_400000_NS6detail17trampoline_kernelINS0_14default_configENS1_22reduce_config_selectorIN6thrust23THRUST_200600_302600_NS5tupleIbffNS6_9null_typeES8_S8_S8_S8_S8_S8_EEEEZNS1_11reduce_implILb1ES3_PS9_SC_S9_12reduce_tupleIifEEE10hipError_tPvRmT1_T2_T3_mT4_P12ihipStream_tbEUlT_E1_NS1_11comp_targetILNS1_3genE10ELNS1_11target_archE1200ELNS1_3gpuE4ELNS1_3repE0EEENS1_30default_config_static_selectorELNS0_4arch9wavefront6targetE0EEEvSI_.has_dyn_sized_stack, 0
	.set _ZN7rocprim17ROCPRIM_400000_NS6detail17trampoline_kernelINS0_14default_configENS1_22reduce_config_selectorIN6thrust23THRUST_200600_302600_NS5tupleIbffNS6_9null_typeES8_S8_S8_S8_S8_S8_EEEEZNS1_11reduce_implILb1ES3_PS9_SC_S9_12reduce_tupleIifEEE10hipError_tPvRmT1_T2_T3_mT4_P12ihipStream_tbEUlT_E1_NS1_11comp_targetILNS1_3genE10ELNS1_11target_archE1200ELNS1_3gpuE4ELNS1_3repE0EEENS1_30default_config_static_selectorELNS0_4arch9wavefront6targetE0EEEvSI_.has_recursion, 0
	.set _ZN7rocprim17ROCPRIM_400000_NS6detail17trampoline_kernelINS0_14default_configENS1_22reduce_config_selectorIN6thrust23THRUST_200600_302600_NS5tupleIbffNS6_9null_typeES8_S8_S8_S8_S8_S8_EEEEZNS1_11reduce_implILb1ES3_PS9_SC_S9_12reduce_tupleIifEEE10hipError_tPvRmT1_T2_T3_mT4_P12ihipStream_tbEUlT_E1_NS1_11comp_targetILNS1_3genE10ELNS1_11target_archE1200ELNS1_3gpuE4ELNS1_3repE0EEENS1_30default_config_static_selectorELNS0_4arch9wavefront6targetE0EEEvSI_.has_indirect_call, 0
	.section	.AMDGPU.csdata,"",@progbits
; Kernel info:
; codeLenInByte = 0
; TotalNumSgprs: 0
; NumVgprs: 0
; ScratchSize: 0
; MemoryBound: 0
; FloatMode: 240
; IeeeMode: 1
; LDSByteSize: 0 bytes/workgroup (compile time only)
; SGPRBlocks: 0
; VGPRBlocks: 0
; NumSGPRsForWavesPerEU: 1
; NumVGPRsForWavesPerEU: 1
; Occupancy: 16
; WaveLimiterHint : 0
; COMPUTE_PGM_RSRC2:SCRATCH_EN: 0
; COMPUTE_PGM_RSRC2:USER_SGPR: 6
; COMPUTE_PGM_RSRC2:TRAP_HANDLER: 0
; COMPUTE_PGM_RSRC2:TGID_X_EN: 1
; COMPUTE_PGM_RSRC2:TGID_Y_EN: 0
; COMPUTE_PGM_RSRC2:TGID_Z_EN: 0
; COMPUTE_PGM_RSRC2:TIDIG_COMP_CNT: 0
	.section	.text._ZN7rocprim17ROCPRIM_400000_NS6detail17trampoline_kernelINS0_14default_configENS1_22reduce_config_selectorIN6thrust23THRUST_200600_302600_NS5tupleIbffNS6_9null_typeES8_S8_S8_S8_S8_S8_EEEEZNS1_11reduce_implILb1ES3_PS9_SC_S9_12reduce_tupleIifEEE10hipError_tPvRmT1_T2_T3_mT4_P12ihipStream_tbEUlT_E1_NS1_11comp_targetILNS1_3genE9ELNS1_11target_archE1100ELNS1_3gpuE3ELNS1_3repE0EEENS1_30default_config_static_selectorELNS0_4arch9wavefront6targetE0EEEvSI_,"axG",@progbits,_ZN7rocprim17ROCPRIM_400000_NS6detail17trampoline_kernelINS0_14default_configENS1_22reduce_config_selectorIN6thrust23THRUST_200600_302600_NS5tupleIbffNS6_9null_typeES8_S8_S8_S8_S8_S8_EEEEZNS1_11reduce_implILb1ES3_PS9_SC_S9_12reduce_tupleIifEEE10hipError_tPvRmT1_T2_T3_mT4_P12ihipStream_tbEUlT_E1_NS1_11comp_targetILNS1_3genE9ELNS1_11target_archE1100ELNS1_3gpuE3ELNS1_3repE0EEENS1_30default_config_static_selectorELNS0_4arch9wavefront6targetE0EEEvSI_,comdat
	.protected	_ZN7rocprim17ROCPRIM_400000_NS6detail17trampoline_kernelINS0_14default_configENS1_22reduce_config_selectorIN6thrust23THRUST_200600_302600_NS5tupleIbffNS6_9null_typeES8_S8_S8_S8_S8_S8_EEEEZNS1_11reduce_implILb1ES3_PS9_SC_S9_12reduce_tupleIifEEE10hipError_tPvRmT1_T2_T3_mT4_P12ihipStream_tbEUlT_E1_NS1_11comp_targetILNS1_3genE9ELNS1_11target_archE1100ELNS1_3gpuE3ELNS1_3repE0EEENS1_30default_config_static_selectorELNS0_4arch9wavefront6targetE0EEEvSI_ ; -- Begin function _ZN7rocprim17ROCPRIM_400000_NS6detail17trampoline_kernelINS0_14default_configENS1_22reduce_config_selectorIN6thrust23THRUST_200600_302600_NS5tupleIbffNS6_9null_typeES8_S8_S8_S8_S8_S8_EEEEZNS1_11reduce_implILb1ES3_PS9_SC_S9_12reduce_tupleIifEEE10hipError_tPvRmT1_T2_T3_mT4_P12ihipStream_tbEUlT_E1_NS1_11comp_targetILNS1_3genE9ELNS1_11target_archE1100ELNS1_3gpuE3ELNS1_3repE0EEENS1_30default_config_static_selectorELNS0_4arch9wavefront6targetE0EEEvSI_
	.globl	_ZN7rocprim17ROCPRIM_400000_NS6detail17trampoline_kernelINS0_14default_configENS1_22reduce_config_selectorIN6thrust23THRUST_200600_302600_NS5tupleIbffNS6_9null_typeES8_S8_S8_S8_S8_S8_EEEEZNS1_11reduce_implILb1ES3_PS9_SC_S9_12reduce_tupleIifEEE10hipError_tPvRmT1_T2_T3_mT4_P12ihipStream_tbEUlT_E1_NS1_11comp_targetILNS1_3genE9ELNS1_11target_archE1100ELNS1_3gpuE3ELNS1_3repE0EEENS1_30default_config_static_selectorELNS0_4arch9wavefront6targetE0EEEvSI_
	.p2align	8
	.type	_ZN7rocprim17ROCPRIM_400000_NS6detail17trampoline_kernelINS0_14default_configENS1_22reduce_config_selectorIN6thrust23THRUST_200600_302600_NS5tupleIbffNS6_9null_typeES8_S8_S8_S8_S8_S8_EEEEZNS1_11reduce_implILb1ES3_PS9_SC_S9_12reduce_tupleIifEEE10hipError_tPvRmT1_T2_T3_mT4_P12ihipStream_tbEUlT_E1_NS1_11comp_targetILNS1_3genE9ELNS1_11target_archE1100ELNS1_3gpuE3ELNS1_3repE0EEENS1_30default_config_static_selectorELNS0_4arch9wavefront6targetE0EEEvSI_,@function
_ZN7rocprim17ROCPRIM_400000_NS6detail17trampoline_kernelINS0_14default_configENS1_22reduce_config_selectorIN6thrust23THRUST_200600_302600_NS5tupleIbffNS6_9null_typeES8_S8_S8_S8_S8_S8_EEEEZNS1_11reduce_implILb1ES3_PS9_SC_S9_12reduce_tupleIifEEE10hipError_tPvRmT1_T2_T3_mT4_P12ihipStream_tbEUlT_E1_NS1_11comp_targetILNS1_3genE9ELNS1_11target_archE1100ELNS1_3gpuE3ELNS1_3repE0EEENS1_30default_config_static_selectorELNS0_4arch9wavefront6targetE0EEEvSI_: ; @_ZN7rocprim17ROCPRIM_400000_NS6detail17trampoline_kernelINS0_14default_configENS1_22reduce_config_selectorIN6thrust23THRUST_200600_302600_NS5tupleIbffNS6_9null_typeES8_S8_S8_S8_S8_S8_EEEEZNS1_11reduce_implILb1ES3_PS9_SC_S9_12reduce_tupleIifEEE10hipError_tPvRmT1_T2_T3_mT4_P12ihipStream_tbEUlT_E1_NS1_11comp_targetILNS1_3genE9ELNS1_11target_archE1100ELNS1_3gpuE3ELNS1_3repE0EEENS1_30default_config_static_selectorELNS0_4arch9wavefront6targetE0EEEvSI_
; %bb.0:
	.section	.rodata,"a",@progbits
	.p2align	6, 0x0
	.amdhsa_kernel _ZN7rocprim17ROCPRIM_400000_NS6detail17trampoline_kernelINS0_14default_configENS1_22reduce_config_selectorIN6thrust23THRUST_200600_302600_NS5tupleIbffNS6_9null_typeES8_S8_S8_S8_S8_S8_EEEEZNS1_11reduce_implILb1ES3_PS9_SC_S9_12reduce_tupleIifEEE10hipError_tPvRmT1_T2_T3_mT4_P12ihipStream_tbEUlT_E1_NS1_11comp_targetILNS1_3genE9ELNS1_11target_archE1100ELNS1_3gpuE3ELNS1_3repE0EEENS1_30default_config_static_selectorELNS0_4arch9wavefront6targetE0EEEvSI_
		.amdhsa_group_segment_fixed_size 0
		.amdhsa_private_segment_fixed_size 0
		.amdhsa_kernarg_size 48
		.amdhsa_user_sgpr_count 6
		.amdhsa_user_sgpr_private_segment_buffer 1
		.amdhsa_user_sgpr_dispatch_ptr 0
		.amdhsa_user_sgpr_queue_ptr 0
		.amdhsa_user_sgpr_kernarg_segment_ptr 1
		.amdhsa_user_sgpr_dispatch_id 0
		.amdhsa_user_sgpr_flat_scratch_init 0
		.amdhsa_user_sgpr_private_segment_size 0
		.amdhsa_wavefront_size32 1
		.amdhsa_uses_dynamic_stack 0
		.amdhsa_system_sgpr_private_segment_wavefront_offset 0
		.amdhsa_system_sgpr_workgroup_id_x 1
		.amdhsa_system_sgpr_workgroup_id_y 0
		.amdhsa_system_sgpr_workgroup_id_z 0
		.amdhsa_system_sgpr_workgroup_info 0
		.amdhsa_system_vgpr_workitem_id 0
		.amdhsa_next_free_vgpr 1
		.amdhsa_next_free_sgpr 1
		.amdhsa_reserve_vcc 0
		.amdhsa_reserve_flat_scratch 0
		.amdhsa_float_round_mode_32 0
		.amdhsa_float_round_mode_16_64 0
		.amdhsa_float_denorm_mode_32 3
		.amdhsa_float_denorm_mode_16_64 3
		.amdhsa_dx10_clamp 1
		.amdhsa_ieee_mode 1
		.amdhsa_fp16_overflow 0
		.amdhsa_workgroup_processor_mode 1
		.amdhsa_memory_ordered 1
		.amdhsa_forward_progress 1
		.amdhsa_shared_vgpr_count 0
		.amdhsa_exception_fp_ieee_invalid_op 0
		.amdhsa_exception_fp_denorm_src 0
		.amdhsa_exception_fp_ieee_div_zero 0
		.amdhsa_exception_fp_ieee_overflow 0
		.amdhsa_exception_fp_ieee_underflow 0
		.amdhsa_exception_fp_ieee_inexact 0
		.amdhsa_exception_int_div_zero 0
	.end_amdhsa_kernel
	.section	.text._ZN7rocprim17ROCPRIM_400000_NS6detail17trampoline_kernelINS0_14default_configENS1_22reduce_config_selectorIN6thrust23THRUST_200600_302600_NS5tupleIbffNS6_9null_typeES8_S8_S8_S8_S8_S8_EEEEZNS1_11reduce_implILb1ES3_PS9_SC_S9_12reduce_tupleIifEEE10hipError_tPvRmT1_T2_T3_mT4_P12ihipStream_tbEUlT_E1_NS1_11comp_targetILNS1_3genE9ELNS1_11target_archE1100ELNS1_3gpuE3ELNS1_3repE0EEENS1_30default_config_static_selectorELNS0_4arch9wavefront6targetE0EEEvSI_,"axG",@progbits,_ZN7rocprim17ROCPRIM_400000_NS6detail17trampoline_kernelINS0_14default_configENS1_22reduce_config_selectorIN6thrust23THRUST_200600_302600_NS5tupleIbffNS6_9null_typeES8_S8_S8_S8_S8_S8_EEEEZNS1_11reduce_implILb1ES3_PS9_SC_S9_12reduce_tupleIifEEE10hipError_tPvRmT1_T2_T3_mT4_P12ihipStream_tbEUlT_E1_NS1_11comp_targetILNS1_3genE9ELNS1_11target_archE1100ELNS1_3gpuE3ELNS1_3repE0EEENS1_30default_config_static_selectorELNS0_4arch9wavefront6targetE0EEEvSI_,comdat
.Lfunc_end17:
	.size	_ZN7rocprim17ROCPRIM_400000_NS6detail17trampoline_kernelINS0_14default_configENS1_22reduce_config_selectorIN6thrust23THRUST_200600_302600_NS5tupleIbffNS6_9null_typeES8_S8_S8_S8_S8_S8_EEEEZNS1_11reduce_implILb1ES3_PS9_SC_S9_12reduce_tupleIifEEE10hipError_tPvRmT1_T2_T3_mT4_P12ihipStream_tbEUlT_E1_NS1_11comp_targetILNS1_3genE9ELNS1_11target_archE1100ELNS1_3gpuE3ELNS1_3repE0EEENS1_30default_config_static_selectorELNS0_4arch9wavefront6targetE0EEEvSI_, .Lfunc_end17-_ZN7rocprim17ROCPRIM_400000_NS6detail17trampoline_kernelINS0_14default_configENS1_22reduce_config_selectorIN6thrust23THRUST_200600_302600_NS5tupleIbffNS6_9null_typeES8_S8_S8_S8_S8_S8_EEEEZNS1_11reduce_implILb1ES3_PS9_SC_S9_12reduce_tupleIifEEE10hipError_tPvRmT1_T2_T3_mT4_P12ihipStream_tbEUlT_E1_NS1_11comp_targetILNS1_3genE9ELNS1_11target_archE1100ELNS1_3gpuE3ELNS1_3repE0EEENS1_30default_config_static_selectorELNS0_4arch9wavefront6targetE0EEEvSI_
                                        ; -- End function
	.set _ZN7rocprim17ROCPRIM_400000_NS6detail17trampoline_kernelINS0_14default_configENS1_22reduce_config_selectorIN6thrust23THRUST_200600_302600_NS5tupleIbffNS6_9null_typeES8_S8_S8_S8_S8_S8_EEEEZNS1_11reduce_implILb1ES3_PS9_SC_S9_12reduce_tupleIifEEE10hipError_tPvRmT1_T2_T3_mT4_P12ihipStream_tbEUlT_E1_NS1_11comp_targetILNS1_3genE9ELNS1_11target_archE1100ELNS1_3gpuE3ELNS1_3repE0EEENS1_30default_config_static_selectorELNS0_4arch9wavefront6targetE0EEEvSI_.num_vgpr, 0
	.set _ZN7rocprim17ROCPRIM_400000_NS6detail17trampoline_kernelINS0_14default_configENS1_22reduce_config_selectorIN6thrust23THRUST_200600_302600_NS5tupleIbffNS6_9null_typeES8_S8_S8_S8_S8_S8_EEEEZNS1_11reduce_implILb1ES3_PS9_SC_S9_12reduce_tupleIifEEE10hipError_tPvRmT1_T2_T3_mT4_P12ihipStream_tbEUlT_E1_NS1_11comp_targetILNS1_3genE9ELNS1_11target_archE1100ELNS1_3gpuE3ELNS1_3repE0EEENS1_30default_config_static_selectorELNS0_4arch9wavefront6targetE0EEEvSI_.num_agpr, 0
	.set _ZN7rocprim17ROCPRIM_400000_NS6detail17trampoline_kernelINS0_14default_configENS1_22reduce_config_selectorIN6thrust23THRUST_200600_302600_NS5tupleIbffNS6_9null_typeES8_S8_S8_S8_S8_S8_EEEEZNS1_11reduce_implILb1ES3_PS9_SC_S9_12reduce_tupleIifEEE10hipError_tPvRmT1_T2_T3_mT4_P12ihipStream_tbEUlT_E1_NS1_11comp_targetILNS1_3genE9ELNS1_11target_archE1100ELNS1_3gpuE3ELNS1_3repE0EEENS1_30default_config_static_selectorELNS0_4arch9wavefront6targetE0EEEvSI_.numbered_sgpr, 0
	.set _ZN7rocprim17ROCPRIM_400000_NS6detail17trampoline_kernelINS0_14default_configENS1_22reduce_config_selectorIN6thrust23THRUST_200600_302600_NS5tupleIbffNS6_9null_typeES8_S8_S8_S8_S8_S8_EEEEZNS1_11reduce_implILb1ES3_PS9_SC_S9_12reduce_tupleIifEEE10hipError_tPvRmT1_T2_T3_mT4_P12ihipStream_tbEUlT_E1_NS1_11comp_targetILNS1_3genE9ELNS1_11target_archE1100ELNS1_3gpuE3ELNS1_3repE0EEENS1_30default_config_static_selectorELNS0_4arch9wavefront6targetE0EEEvSI_.num_named_barrier, 0
	.set _ZN7rocprim17ROCPRIM_400000_NS6detail17trampoline_kernelINS0_14default_configENS1_22reduce_config_selectorIN6thrust23THRUST_200600_302600_NS5tupleIbffNS6_9null_typeES8_S8_S8_S8_S8_S8_EEEEZNS1_11reduce_implILb1ES3_PS9_SC_S9_12reduce_tupleIifEEE10hipError_tPvRmT1_T2_T3_mT4_P12ihipStream_tbEUlT_E1_NS1_11comp_targetILNS1_3genE9ELNS1_11target_archE1100ELNS1_3gpuE3ELNS1_3repE0EEENS1_30default_config_static_selectorELNS0_4arch9wavefront6targetE0EEEvSI_.private_seg_size, 0
	.set _ZN7rocprim17ROCPRIM_400000_NS6detail17trampoline_kernelINS0_14default_configENS1_22reduce_config_selectorIN6thrust23THRUST_200600_302600_NS5tupleIbffNS6_9null_typeES8_S8_S8_S8_S8_S8_EEEEZNS1_11reduce_implILb1ES3_PS9_SC_S9_12reduce_tupleIifEEE10hipError_tPvRmT1_T2_T3_mT4_P12ihipStream_tbEUlT_E1_NS1_11comp_targetILNS1_3genE9ELNS1_11target_archE1100ELNS1_3gpuE3ELNS1_3repE0EEENS1_30default_config_static_selectorELNS0_4arch9wavefront6targetE0EEEvSI_.uses_vcc, 0
	.set _ZN7rocprim17ROCPRIM_400000_NS6detail17trampoline_kernelINS0_14default_configENS1_22reduce_config_selectorIN6thrust23THRUST_200600_302600_NS5tupleIbffNS6_9null_typeES8_S8_S8_S8_S8_S8_EEEEZNS1_11reduce_implILb1ES3_PS9_SC_S9_12reduce_tupleIifEEE10hipError_tPvRmT1_T2_T3_mT4_P12ihipStream_tbEUlT_E1_NS1_11comp_targetILNS1_3genE9ELNS1_11target_archE1100ELNS1_3gpuE3ELNS1_3repE0EEENS1_30default_config_static_selectorELNS0_4arch9wavefront6targetE0EEEvSI_.uses_flat_scratch, 0
	.set _ZN7rocprim17ROCPRIM_400000_NS6detail17trampoline_kernelINS0_14default_configENS1_22reduce_config_selectorIN6thrust23THRUST_200600_302600_NS5tupleIbffNS6_9null_typeES8_S8_S8_S8_S8_S8_EEEEZNS1_11reduce_implILb1ES3_PS9_SC_S9_12reduce_tupleIifEEE10hipError_tPvRmT1_T2_T3_mT4_P12ihipStream_tbEUlT_E1_NS1_11comp_targetILNS1_3genE9ELNS1_11target_archE1100ELNS1_3gpuE3ELNS1_3repE0EEENS1_30default_config_static_selectorELNS0_4arch9wavefront6targetE0EEEvSI_.has_dyn_sized_stack, 0
	.set _ZN7rocprim17ROCPRIM_400000_NS6detail17trampoline_kernelINS0_14default_configENS1_22reduce_config_selectorIN6thrust23THRUST_200600_302600_NS5tupleIbffNS6_9null_typeES8_S8_S8_S8_S8_S8_EEEEZNS1_11reduce_implILb1ES3_PS9_SC_S9_12reduce_tupleIifEEE10hipError_tPvRmT1_T2_T3_mT4_P12ihipStream_tbEUlT_E1_NS1_11comp_targetILNS1_3genE9ELNS1_11target_archE1100ELNS1_3gpuE3ELNS1_3repE0EEENS1_30default_config_static_selectorELNS0_4arch9wavefront6targetE0EEEvSI_.has_recursion, 0
	.set _ZN7rocprim17ROCPRIM_400000_NS6detail17trampoline_kernelINS0_14default_configENS1_22reduce_config_selectorIN6thrust23THRUST_200600_302600_NS5tupleIbffNS6_9null_typeES8_S8_S8_S8_S8_S8_EEEEZNS1_11reduce_implILb1ES3_PS9_SC_S9_12reduce_tupleIifEEE10hipError_tPvRmT1_T2_T3_mT4_P12ihipStream_tbEUlT_E1_NS1_11comp_targetILNS1_3genE9ELNS1_11target_archE1100ELNS1_3gpuE3ELNS1_3repE0EEENS1_30default_config_static_selectorELNS0_4arch9wavefront6targetE0EEEvSI_.has_indirect_call, 0
	.section	.AMDGPU.csdata,"",@progbits
; Kernel info:
; codeLenInByte = 0
; TotalNumSgprs: 0
; NumVgprs: 0
; ScratchSize: 0
; MemoryBound: 0
; FloatMode: 240
; IeeeMode: 1
; LDSByteSize: 0 bytes/workgroup (compile time only)
; SGPRBlocks: 0
; VGPRBlocks: 0
; NumSGPRsForWavesPerEU: 1
; NumVGPRsForWavesPerEU: 1
; Occupancy: 16
; WaveLimiterHint : 0
; COMPUTE_PGM_RSRC2:SCRATCH_EN: 0
; COMPUTE_PGM_RSRC2:USER_SGPR: 6
; COMPUTE_PGM_RSRC2:TRAP_HANDLER: 0
; COMPUTE_PGM_RSRC2:TGID_X_EN: 1
; COMPUTE_PGM_RSRC2:TGID_Y_EN: 0
; COMPUTE_PGM_RSRC2:TGID_Z_EN: 0
; COMPUTE_PGM_RSRC2:TIDIG_COMP_CNT: 0
	.section	.text._ZN7rocprim17ROCPRIM_400000_NS6detail17trampoline_kernelINS0_14default_configENS1_22reduce_config_selectorIN6thrust23THRUST_200600_302600_NS5tupleIbffNS6_9null_typeES8_S8_S8_S8_S8_S8_EEEEZNS1_11reduce_implILb1ES3_PS9_SC_S9_12reduce_tupleIifEEE10hipError_tPvRmT1_T2_T3_mT4_P12ihipStream_tbEUlT_E1_NS1_11comp_targetILNS1_3genE8ELNS1_11target_archE1030ELNS1_3gpuE2ELNS1_3repE0EEENS1_30default_config_static_selectorELNS0_4arch9wavefront6targetE0EEEvSI_,"axG",@progbits,_ZN7rocprim17ROCPRIM_400000_NS6detail17trampoline_kernelINS0_14default_configENS1_22reduce_config_selectorIN6thrust23THRUST_200600_302600_NS5tupleIbffNS6_9null_typeES8_S8_S8_S8_S8_S8_EEEEZNS1_11reduce_implILb1ES3_PS9_SC_S9_12reduce_tupleIifEEE10hipError_tPvRmT1_T2_T3_mT4_P12ihipStream_tbEUlT_E1_NS1_11comp_targetILNS1_3genE8ELNS1_11target_archE1030ELNS1_3gpuE2ELNS1_3repE0EEENS1_30default_config_static_selectorELNS0_4arch9wavefront6targetE0EEEvSI_,comdat
	.protected	_ZN7rocprim17ROCPRIM_400000_NS6detail17trampoline_kernelINS0_14default_configENS1_22reduce_config_selectorIN6thrust23THRUST_200600_302600_NS5tupleIbffNS6_9null_typeES8_S8_S8_S8_S8_S8_EEEEZNS1_11reduce_implILb1ES3_PS9_SC_S9_12reduce_tupleIifEEE10hipError_tPvRmT1_T2_T3_mT4_P12ihipStream_tbEUlT_E1_NS1_11comp_targetILNS1_3genE8ELNS1_11target_archE1030ELNS1_3gpuE2ELNS1_3repE0EEENS1_30default_config_static_selectorELNS0_4arch9wavefront6targetE0EEEvSI_ ; -- Begin function _ZN7rocprim17ROCPRIM_400000_NS6detail17trampoline_kernelINS0_14default_configENS1_22reduce_config_selectorIN6thrust23THRUST_200600_302600_NS5tupleIbffNS6_9null_typeES8_S8_S8_S8_S8_S8_EEEEZNS1_11reduce_implILb1ES3_PS9_SC_S9_12reduce_tupleIifEEE10hipError_tPvRmT1_T2_T3_mT4_P12ihipStream_tbEUlT_E1_NS1_11comp_targetILNS1_3genE8ELNS1_11target_archE1030ELNS1_3gpuE2ELNS1_3repE0EEENS1_30default_config_static_selectorELNS0_4arch9wavefront6targetE0EEEvSI_
	.globl	_ZN7rocprim17ROCPRIM_400000_NS6detail17trampoline_kernelINS0_14default_configENS1_22reduce_config_selectorIN6thrust23THRUST_200600_302600_NS5tupleIbffNS6_9null_typeES8_S8_S8_S8_S8_S8_EEEEZNS1_11reduce_implILb1ES3_PS9_SC_S9_12reduce_tupleIifEEE10hipError_tPvRmT1_T2_T3_mT4_P12ihipStream_tbEUlT_E1_NS1_11comp_targetILNS1_3genE8ELNS1_11target_archE1030ELNS1_3gpuE2ELNS1_3repE0EEENS1_30default_config_static_selectorELNS0_4arch9wavefront6targetE0EEEvSI_
	.p2align	8
	.type	_ZN7rocprim17ROCPRIM_400000_NS6detail17trampoline_kernelINS0_14default_configENS1_22reduce_config_selectorIN6thrust23THRUST_200600_302600_NS5tupleIbffNS6_9null_typeES8_S8_S8_S8_S8_S8_EEEEZNS1_11reduce_implILb1ES3_PS9_SC_S9_12reduce_tupleIifEEE10hipError_tPvRmT1_T2_T3_mT4_P12ihipStream_tbEUlT_E1_NS1_11comp_targetILNS1_3genE8ELNS1_11target_archE1030ELNS1_3gpuE2ELNS1_3repE0EEENS1_30default_config_static_selectorELNS0_4arch9wavefront6targetE0EEEvSI_,@function
_ZN7rocprim17ROCPRIM_400000_NS6detail17trampoline_kernelINS0_14default_configENS1_22reduce_config_selectorIN6thrust23THRUST_200600_302600_NS5tupleIbffNS6_9null_typeES8_S8_S8_S8_S8_S8_EEEEZNS1_11reduce_implILb1ES3_PS9_SC_S9_12reduce_tupleIifEEE10hipError_tPvRmT1_T2_T3_mT4_P12ihipStream_tbEUlT_E1_NS1_11comp_targetILNS1_3genE8ELNS1_11target_archE1030ELNS1_3gpuE2ELNS1_3repE0EEENS1_30default_config_static_selectorELNS0_4arch9wavefront6targetE0EEEvSI_: ; @_ZN7rocprim17ROCPRIM_400000_NS6detail17trampoline_kernelINS0_14default_configENS1_22reduce_config_selectorIN6thrust23THRUST_200600_302600_NS5tupleIbffNS6_9null_typeES8_S8_S8_S8_S8_S8_EEEEZNS1_11reduce_implILb1ES3_PS9_SC_S9_12reduce_tupleIifEEE10hipError_tPvRmT1_T2_T3_mT4_P12ihipStream_tbEUlT_E1_NS1_11comp_targetILNS1_3genE8ELNS1_11target_archE1030ELNS1_3gpuE2ELNS1_3repE0EEENS1_30default_config_static_selectorELNS0_4arch9wavefront6targetE0EEEvSI_
; %bb.0:
	s_clause 0x3
	s_load_dword s27, s[4:5], 0x4
	s_load_dwordx4 s[20:23], s[4:5], 0x8
	s_load_dword s26, s[4:5], 0x20
	s_load_dwordx2 s[24:25], s[4:5], 0x24
	s_waitcnt lgkmcnt(0)
	s_cmp_lt_i32 s27, 4
	s_cbranch_scc1 .LBB18_148
; %bb.1:
	s_cmp_gt_i32 s27, 7
	s_cbranch_scc0 .LBB18_149
; %bb.2:
	s_cmp_gt_i32 s27, 15
	s_cbranch_scc0 .LBB18_150
; %bb.3:
	s_cmp_eq_u32 s27, 16
	s_mov_b32 s28, 0
	s_cbranch_scc0 .LBB18_151
; %bb.4:
	s_lshl_b32 s1, s6, 12
	s_mul_i32 s0, s6, 0xc000
	s_lshr_b64 s[2:3], s[22:23], 12
	s_mul_hi_u32 s8, s1, 12
	s_mov_b32 s7, 0
	s_add_u32 s18, s20, s0
	s_addc_u32 s19, s21, s8
	s_cmp_lg_u64 s[2:3], s[6:7]
	s_cbranch_scc0 .LBB18_250
; %bb.5:
	v_mad_u64_u32 v[3:4], null, v0, 12, s[18:19]
	s_mov_b32 s0, exec_lo
	v_add_co_u32 v5, vcc_lo, 0x800, v3
	v_add_co_ci_u32_e64 v6, null, 0, v4, vcc_lo
	v_add_co_u32 v7, vcc_lo, 0x1800, v3
	v_add_co_ci_u32_e64 v8, null, 0, v4, vcc_lo
	v_add_co_u32 v9, vcc_lo, 0x2000, v3
	v_add_co_ci_u32_e64 v10, null, 0, v4, vcc_lo
	s_clause 0x7
	global_load_ubyte v48, v[3:4], off
	global_load_dwordx2 v[1:2], v[3:4], off offset:4
	global_load_ubyte v47, v[5:6], off offset:1024
	global_load_dwordx2 v[31:32], v[5:6], off offset:1028
	global_load_ubyte v46, v[7:8], off
	global_load_dwordx2 v[29:30], v[7:8], off offset:4
	global_load_ubyte v45, v[9:10], off offset:1024
	global_load_dwordx2 v[27:28], v[9:10], off offset:1028
	v_add_co_u32 v5, vcc_lo, 0x3000, v3
	v_add_co_ci_u32_e64 v6, null, 0, v4, vcc_lo
	v_add_co_u32 v7, vcc_lo, 0x3800, v3
	v_add_co_ci_u32_e64 v8, null, 0, v4, vcc_lo
	v_add_co_u32 v9, vcc_lo, 0x4800, v3
	v_add_co_ci_u32_e64 v10, null, 0, v4, vcc_lo
	v_add_co_u32 v11, vcc_lo, 0x5000, v3
	v_add_co_ci_u32_e64 v12, null, 0, v4, vcc_lo
	s_clause 0x7
	global_load_ubyte v44, v[5:6], off
	global_load_dwordx2 v[25:26], v[5:6], off offset:4
	global_load_ubyte v43, v[7:8], off offset:1024
	global_load_dwordx2 v[23:24], v[7:8], off offset:1028
	global_load_ubyte v42, v[9:10], off
	global_load_dwordx2 v[21:22], v[9:10], off offset:4
	global_load_ubyte v41, v[11:12], off offset:1024
	global_load_dwordx2 v[19:20], v[11:12], off offset:1028
	v_add_co_u32 v5, vcc_lo, 0x6000, v3
	v_add_co_ci_u32_e64 v6, null, 0, v4, vcc_lo
	;; [unrolled: 17-line block ×3, first 2 shown]
	v_add_co_u32 v7, vcc_lo, 0x9800, v3
	v_add_co_ci_u32_e64 v8, null, 0, v4, vcc_lo
	v_add_co_u32 v49, vcc_lo, 0xa800, v3
	v_add_co_ci_u32_e64 v50, null, 0, v4, vcc_lo
	;; [unrolled: 2-line block ×3, first 2 shown]
	s_clause 0x7
	global_load_ubyte v36, v[5:6], off
	global_load_dwordx2 v[9:10], v[5:6], off offset:4
	global_load_ubyte v35, v[7:8], off offset:1024
	global_load_dwordx2 v[7:8], v[7:8], off offset:1028
	global_load_ubyte v34, v[49:50], off
	global_load_dwordx2 v[5:6], v[49:50], off offset:4
	global_load_ubyte v33, v[3:4], off offset:1024
	global_load_dwordx2 v[3:4], v[3:4], off offset:1028
	s_waitcnt vmcnt(29)
	v_and_b32_e32 v49, v47, v48
	v_and_b32_e32 v49, 1, v49
	v_cmpx_eq_u32_e32 1, v49
	s_xor_b32 s0, exec_lo, s0
	s_cbranch_execz .LBB18_7
; %bb.6:
	s_waitcnt vmcnt(28)
	v_cmp_lt_f32_e32 vcc_lo, v31, v1
                                        ; implicit-def: $vgpr48
                                        ; implicit-def: $vgpr47
	v_cndmask_b32_e32 v1, v1, v31, vcc_lo
	v_cmp_lt_f32_e32 vcc_lo, v2, v32
	v_cndmask_b32_e32 v2, v2, v32, vcc_lo
                                        ; implicit-def: $vgpr32
.LBB18_7:
	s_or_saveexec_b32 s0, s0
	s_mov_b32 s3, -1
	s_xor_b32 exec_lo, exec_lo, s0
	s_cbranch_execz .LBB18_11
; %bb.8:
	v_and_b32_e32 v48, 1, v48
	s_mov_b32 s2, -1
	v_cmp_eq_u32_e32 vcc_lo, 1, v48
	s_xor_b32 s8, vcc_lo, -1
	s_and_saveexec_b32 s3, s8
	s_cbranch_execz .LBB18_10
; %bb.9:
	v_and_b32_e32 v1, 1, v47
	s_waitcnt vmcnt(28)
	v_mov_b32_e32 v2, v32
	v_cmp_eq_u32_e32 vcc_lo, 1, v1
	v_mov_b32_e32 v1, v31
	s_orn2_b32 s2, vcc_lo, exec_lo
.LBB18_10:
	s_or_b32 exec_lo, exec_lo, s3
	s_orn2_b32 s3, s2, exec_lo
.LBB18_11:
	s_or_b32 exec_lo, exec_lo, s0
	s_waitcnt vmcnt(27)
	v_and_b32_e32 v31, 1, v46
                                        ; implicit-def: $sgpr2
	v_cmp_eq_u32_e32 vcc_lo, 1, v31
	s_and_b32 s0, s3, vcc_lo
	s_xor_b32 s0, s0, -1
	s_and_saveexec_b32 s8, s0
	s_xor_b32 s0, exec_lo, s8
	s_cbranch_execz .LBB18_15
; %bb.12:
	s_xor_b32 s8, s3, -1
	s_mov_b32 s2, -1
	s_and_saveexec_b32 s3, s8
	s_cbranch_execz .LBB18_14
; %bb.13:
	s_waitcnt vmcnt(26)
	v_mov_b32_e32 v2, v30
	v_mov_b32_e32 v1, v29
	s_orn2_b32 s2, vcc_lo, exec_lo
.LBB18_14:
	s_or_b32 exec_lo, exec_lo, s3
                                        ; implicit-def: $vgpr29_vgpr30
.LBB18_15:
	s_andn2_saveexec_b32 s0, s0
	s_cbranch_execz .LBB18_17
; %bb.16:
	s_waitcnt vmcnt(26)
	v_cmp_lt_f32_e32 vcc_lo, v29, v1
	s_or_b32 s2, s2, exec_lo
	v_cndmask_b32_e32 v1, v1, v29, vcc_lo
	v_cmp_lt_f32_e32 vcc_lo, v2, v30
	v_cndmask_b32_e32 v2, v2, v30, vcc_lo
.LBB18_17:
	s_or_b32 exec_lo, exec_lo, s0
	s_waitcnt vmcnt(25)
	v_and_b32_e32 v29, 1, v45
	s_mov_b32 s0, -1
	v_cmp_eq_u32_e32 vcc_lo, 1, v29
	s_and_b32 s3, s2, vcc_lo
	s_xor_b32 s3, s3, -1
	s_and_saveexec_b32 s8, s3
	s_xor_b32 s3, exec_lo, s8
	s_cbranch_execz .LBB18_21
; %bb.18:
	s_xor_b32 s8, s2, -1
	s_and_saveexec_b32 s2, s8
	s_cbranch_execz .LBB18_20
; %bb.19:
	s_waitcnt vmcnt(24)
	v_mov_b32_e32 v2, v28
	v_mov_b32_e32 v1, v27
	s_orn2_b32 s0, vcc_lo, exec_lo
.LBB18_20:
	s_or_b32 exec_lo, exec_lo, s2
                                        ; implicit-def: $vgpr27_vgpr28
.LBB18_21:
	s_andn2_saveexec_b32 s2, s3
	s_cbranch_execz .LBB18_23
; %bb.22:
	s_waitcnt vmcnt(24)
	v_cmp_lt_f32_e32 vcc_lo, v27, v1
	s_or_b32 s0, s0, exec_lo
	v_cndmask_b32_e32 v1, v1, v27, vcc_lo
	v_cmp_lt_f32_e32 vcc_lo, v2, v28
	v_cndmask_b32_e32 v2, v2, v28, vcc_lo
.LBB18_23:
	s_or_b32 exec_lo, exec_lo, s2
	s_waitcnt vmcnt(23)
	v_and_b32_e32 v27, 1, v44
	s_mov_b32 s2, -1
	v_cmp_eq_u32_e32 vcc_lo, 1, v27
	s_and_b32 s3, s0, vcc_lo
	s_xor_b32 s3, s3, -1
	s_and_saveexec_b32 s8, s3
	s_xor_b32 s3, exec_lo, s8
	s_cbranch_execz .LBB18_27
; %bb.24:
	s_xor_b32 s8, s0, -1
	s_and_saveexec_b32 s0, s8
	s_cbranch_execz .LBB18_26
; %bb.25:
	s_waitcnt vmcnt(22)
	v_mov_b32_e32 v2, v26
	v_mov_b32_e32 v1, v25
	s_orn2_b32 s2, vcc_lo, exec_lo
.LBB18_26:
	s_or_b32 exec_lo, exec_lo, s0
                                        ; implicit-def: $vgpr25_vgpr26
.LBB18_27:
	s_andn2_saveexec_b32 s0, s3
	s_cbranch_execz .LBB18_29
; %bb.28:
	s_waitcnt vmcnt(22)
	v_cmp_lt_f32_e32 vcc_lo, v25, v1
	s_or_b32 s2, s2, exec_lo
	v_cndmask_b32_e32 v1, v1, v25, vcc_lo
	v_cmp_lt_f32_e32 vcc_lo, v2, v26
	v_cndmask_b32_e32 v2, v2, v26, vcc_lo
.LBB18_29:
	s_or_b32 exec_lo, exec_lo, s0
	s_waitcnt vmcnt(21)
	v_and_b32_e32 v25, 1, v43
	s_mov_b32 s0, -1
	v_cmp_eq_u32_e32 vcc_lo, 1, v25
	s_and_b32 s3, s2, vcc_lo
	s_xor_b32 s3, s3, -1
	s_and_saveexec_b32 s8, s3
	s_xor_b32 s3, exec_lo, s8
	s_cbranch_execz .LBB18_33
; %bb.30:
	s_xor_b32 s8, s2, -1
	s_and_saveexec_b32 s2, s8
	s_cbranch_execz .LBB18_32
; %bb.31:
	s_waitcnt vmcnt(20)
	v_mov_b32_e32 v2, v24
	v_mov_b32_e32 v1, v23
	s_orn2_b32 s0, vcc_lo, exec_lo
.LBB18_32:
	s_or_b32 exec_lo, exec_lo, s2
                                        ; implicit-def: $vgpr23_vgpr24
.LBB18_33:
	s_andn2_saveexec_b32 s2, s3
	s_cbranch_execz .LBB18_35
; %bb.34:
	s_waitcnt vmcnt(20)
	v_cmp_lt_f32_e32 vcc_lo, v23, v1
	s_or_b32 s0, s0, exec_lo
	v_cndmask_b32_e32 v1, v1, v23, vcc_lo
	v_cmp_lt_f32_e32 vcc_lo, v2, v24
	v_cndmask_b32_e32 v2, v2, v24, vcc_lo
.LBB18_35:
	s_or_b32 exec_lo, exec_lo, s2
	s_waitcnt vmcnt(19)
	v_and_b32_e32 v23, 1, v42
	s_mov_b32 s2, -1
	v_cmp_eq_u32_e32 vcc_lo, 1, v23
	s_and_b32 s3, s0, vcc_lo
	s_xor_b32 s3, s3, -1
	s_and_saveexec_b32 s8, s3
	s_xor_b32 s3, exec_lo, s8
	s_cbranch_execz .LBB18_39
; %bb.36:
	s_xor_b32 s8, s0, -1
	s_and_saveexec_b32 s0, s8
	s_cbranch_execz .LBB18_38
; %bb.37:
	s_waitcnt vmcnt(18)
	v_mov_b32_e32 v2, v22
	v_mov_b32_e32 v1, v21
	s_orn2_b32 s2, vcc_lo, exec_lo
.LBB18_38:
	s_or_b32 exec_lo, exec_lo, s0
                                        ; implicit-def: $vgpr21_vgpr22
.LBB18_39:
	s_andn2_saveexec_b32 s0, s3
	s_cbranch_execz .LBB18_41
; %bb.40:
	s_waitcnt vmcnt(18)
	v_cmp_lt_f32_e32 vcc_lo, v21, v1
	s_or_b32 s2, s2, exec_lo
	v_cndmask_b32_e32 v1, v1, v21, vcc_lo
	v_cmp_lt_f32_e32 vcc_lo, v2, v22
	v_cndmask_b32_e32 v2, v2, v22, vcc_lo
.LBB18_41:
	s_or_b32 exec_lo, exec_lo, s0
	s_waitcnt vmcnt(17)
	v_and_b32_e32 v21, 1, v41
	s_mov_b32 s0, -1
	v_cmp_eq_u32_e32 vcc_lo, 1, v21
	s_and_b32 s3, s2, vcc_lo
	s_xor_b32 s3, s3, -1
	s_and_saveexec_b32 s8, s3
	s_xor_b32 s3, exec_lo, s8
	s_cbranch_execz .LBB18_45
; %bb.42:
	s_xor_b32 s8, s2, -1
	s_and_saveexec_b32 s2, s8
	s_cbranch_execz .LBB18_44
; %bb.43:
	s_waitcnt vmcnt(16)
	v_mov_b32_e32 v2, v20
	v_mov_b32_e32 v1, v19
	s_orn2_b32 s0, vcc_lo, exec_lo
.LBB18_44:
	s_or_b32 exec_lo, exec_lo, s2
                                        ; implicit-def: $vgpr19_vgpr20
.LBB18_45:
	s_andn2_saveexec_b32 s2, s3
	s_cbranch_execz .LBB18_47
; %bb.46:
	s_waitcnt vmcnt(16)
	v_cmp_lt_f32_e32 vcc_lo, v19, v1
	s_or_b32 s0, s0, exec_lo
	v_cndmask_b32_e32 v1, v1, v19, vcc_lo
	v_cmp_lt_f32_e32 vcc_lo, v2, v20
	v_cndmask_b32_e32 v2, v2, v20, vcc_lo
.LBB18_47:
	s_or_b32 exec_lo, exec_lo, s2
	s_waitcnt vmcnt(15)
	v_and_b32_e32 v19, 1, v40
	s_mov_b32 s2, -1
	v_cmp_eq_u32_e32 vcc_lo, 1, v19
	s_and_b32 s3, s0, vcc_lo
	s_xor_b32 s3, s3, -1
	s_and_saveexec_b32 s8, s3
	s_xor_b32 s3, exec_lo, s8
	s_cbranch_execz .LBB18_51
; %bb.48:
	s_xor_b32 s8, s0, -1
	s_and_saveexec_b32 s0, s8
	s_cbranch_execz .LBB18_50
; %bb.49:
	s_waitcnt vmcnt(14)
	v_mov_b32_e32 v2, v18
	v_mov_b32_e32 v1, v17
	s_orn2_b32 s2, vcc_lo, exec_lo
.LBB18_50:
	s_or_b32 exec_lo, exec_lo, s0
                                        ; implicit-def: $vgpr17_vgpr18
.LBB18_51:
	s_andn2_saveexec_b32 s0, s3
	s_cbranch_execz .LBB18_53
; %bb.52:
	s_waitcnt vmcnt(14)
	v_cmp_lt_f32_e32 vcc_lo, v17, v1
	s_or_b32 s2, s2, exec_lo
	v_cndmask_b32_e32 v1, v1, v17, vcc_lo
	v_cmp_lt_f32_e32 vcc_lo, v2, v18
	v_cndmask_b32_e32 v2, v2, v18, vcc_lo
.LBB18_53:
	s_or_b32 exec_lo, exec_lo, s0
	s_waitcnt vmcnt(13)
	v_and_b32_e32 v17, 1, v39
	s_mov_b32 s0, -1
	v_cmp_eq_u32_e32 vcc_lo, 1, v17
	s_and_b32 s3, s2, vcc_lo
	s_xor_b32 s3, s3, -1
	s_and_saveexec_b32 s8, s3
	s_xor_b32 s3, exec_lo, s8
	s_cbranch_execz .LBB18_57
; %bb.54:
	s_xor_b32 s8, s2, -1
	s_and_saveexec_b32 s2, s8
	s_cbranch_execz .LBB18_56
; %bb.55:
	s_waitcnt vmcnt(12)
	v_mov_b32_e32 v2, v16
	v_mov_b32_e32 v1, v15
	s_orn2_b32 s0, vcc_lo, exec_lo
.LBB18_56:
	s_or_b32 exec_lo, exec_lo, s2
                                        ; implicit-def: $vgpr15_vgpr16
.LBB18_57:
	s_andn2_saveexec_b32 s2, s3
	s_cbranch_execz .LBB18_59
; %bb.58:
	s_waitcnt vmcnt(12)
	v_cmp_lt_f32_e32 vcc_lo, v15, v1
	s_or_b32 s0, s0, exec_lo
	v_cndmask_b32_e32 v1, v1, v15, vcc_lo
	v_cmp_lt_f32_e32 vcc_lo, v2, v16
	v_cndmask_b32_e32 v2, v2, v16, vcc_lo
.LBB18_59:
	s_or_b32 exec_lo, exec_lo, s2
	s_waitcnt vmcnt(11)
	v_and_b32_e32 v15, 1, v38
	s_mov_b32 s2, -1
	v_cmp_eq_u32_e32 vcc_lo, 1, v15
	s_and_b32 s3, s0, vcc_lo
	s_xor_b32 s3, s3, -1
	s_and_saveexec_b32 s8, s3
	s_xor_b32 s3, exec_lo, s8
	s_cbranch_execz .LBB18_63
; %bb.60:
	s_xor_b32 s8, s0, -1
	s_and_saveexec_b32 s0, s8
	s_cbranch_execz .LBB18_62
; %bb.61:
	s_waitcnt vmcnt(10)
	v_mov_b32_e32 v2, v14
	v_mov_b32_e32 v1, v13
	s_orn2_b32 s2, vcc_lo, exec_lo
.LBB18_62:
	s_or_b32 exec_lo, exec_lo, s0
                                        ; implicit-def: $vgpr13_vgpr14
.LBB18_63:
	s_andn2_saveexec_b32 s0, s3
	s_cbranch_execz .LBB18_65
; %bb.64:
	s_waitcnt vmcnt(10)
	v_cmp_lt_f32_e32 vcc_lo, v13, v1
	s_or_b32 s2, s2, exec_lo
	v_cndmask_b32_e32 v1, v1, v13, vcc_lo
	v_cmp_lt_f32_e32 vcc_lo, v2, v14
	v_cndmask_b32_e32 v2, v2, v14, vcc_lo
.LBB18_65:
	s_or_b32 exec_lo, exec_lo, s0
	s_waitcnt vmcnt(9)
	v_and_b32_e32 v13, 1, v37
	s_mov_b32 s0, -1
	v_cmp_eq_u32_e32 vcc_lo, 1, v13
	s_and_b32 s3, s2, vcc_lo
	s_xor_b32 s3, s3, -1
	s_and_saveexec_b32 s8, s3
	s_xor_b32 s3, exec_lo, s8
	s_cbranch_execz .LBB18_69
; %bb.66:
	s_xor_b32 s8, s2, -1
	s_and_saveexec_b32 s2, s8
	s_cbranch_execz .LBB18_68
; %bb.67:
	s_waitcnt vmcnt(8)
	v_mov_b32_e32 v2, v12
	v_mov_b32_e32 v1, v11
	s_orn2_b32 s0, vcc_lo, exec_lo
.LBB18_68:
	s_or_b32 exec_lo, exec_lo, s2
                                        ; implicit-def: $vgpr11_vgpr12
.LBB18_69:
	s_andn2_saveexec_b32 s2, s3
	s_cbranch_execz .LBB18_71
; %bb.70:
	s_waitcnt vmcnt(8)
	v_cmp_lt_f32_e32 vcc_lo, v11, v1
	s_or_b32 s0, s0, exec_lo
	v_cndmask_b32_e32 v1, v1, v11, vcc_lo
	v_cmp_lt_f32_e32 vcc_lo, v2, v12
	v_cndmask_b32_e32 v2, v2, v12, vcc_lo
.LBB18_71:
	s_or_b32 exec_lo, exec_lo, s2
	s_waitcnt vmcnt(7)
	v_and_b32_e32 v11, 1, v36
	s_mov_b32 s2, -1
	v_cmp_eq_u32_e32 vcc_lo, 1, v11
	s_and_b32 s3, s0, vcc_lo
	s_xor_b32 s3, s3, -1
	s_and_saveexec_b32 s8, s3
	s_xor_b32 s3, exec_lo, s8
	s_cbranch_execz .LBB18_75
; %bb.72:
	s_xor_b32 s8, s0, -1
	s_and_saveexec_b32 s0, s8
	s_cbranch_execz .LBB18_74
; %bb.73:
	s_waitcnt vmcnt(6)
	v_mov_b32_e32 v2, v10
	v_mov_b32_e32 v1, v9
	s_orn2_b32 s2, vcc_lo, exec_lo
.LBB18_74:
	s_or_b32 exec_lo, exec_lo, s0
                                        ; implicit-def: $vgpr9_vgpr10
.LBB18_75:
	s_andn2_saveexec_b32 s0, s3
	s_cbranch_execz .LBB18_77
; %bb.76:
	s_waitcnt vmcnt(6)
	v_cmp_lt_f32_e32 vcc_lo, v9, v1
	s_or_b32 s2, s2, exec_lo
	v_cndmask_b32_e32 v1, v1, v9, vcc_lo
	v_cmp_lt_f32_e32 vcc_lo, v2, v10
	v_cndmask_b32_e32 v2, v2, v10, vcc_lo
.LBB18_77:
	s_or_b32 exec_lo, exec_lo, s0
	s_waitcnt vmcnt(5)
	v_and_b32_e32 v9, 1, v35
	s_mov_b32 s0, -1
	v_cmp_eq_u32_e32 vcc_lo, 1, v9
	s_and_b32 s3, s2, vcc_lo
	s_xor_b32 s3, s3, -1
	s_and_saveexec_b32 s8, s3
	s_xor_b32 s3, exec_lo, s8
	s_cbranch_execz .LBB18_81
; %bb.78:
	s_xor_b32 s8, s2, -1
	s_and_saveexec_b32 s2, s8
	s_cbranch_execz .LBB18_80
; %bb.79:
	s_waitcnt vmcnt(4)
	v_mov_b32_e32 v2, v8
	v_mov_b32_e32 v1, v7
	s_orn2_b32 s0, vcc_lo, exec_lo
.LBB18_80:
	s_or_b32 exec_lo, exec_lo, s2
                                        ; implicit-def: $vgpr7_vgpr8
.LBB18_81:
	s_andn2_saveexec_b32 s2, s3
	s_cbranch_execz .LBB18_83
; %bb.82:
	s_waitcnt vmcnt(4)
	v_cmp_lt_f32_e32 vcc_lo, v7, v1
	s_or_b32 s0, s0, exec_lo
	v_cndmask_b32_e32 v1, v1, v7, vcc_lo
	v_cmp_lt_f32_e32 vcc_lo, v2, v8
	v_cndmask_b32_e32 v2, v2, v8, vcc_lo
.LBB18_83:
	s_or_b32 exec_lo, exec_lo, s2
	s_waitcnt vmcnt(3)
	v_and_b32_e32 v7, 1, v34
	s_mov_b32 s2, -1
	v_cmp_eq_u32_e32 vcc_lo, 1, v7
	s_and_b32 s3, s0, vcc_lo
	s_xor_b32 s3, s3, -1
	s_and_saveexec_b32 s8, s3
	s_xor_b32 s3, exec_lo, s8
	s_cbranch_execz .LBB18_87
; %bb.84:
	s_xor_b32 s8, s0, -1
	s_and_saveexec_b32 s0, s8
	s_cbranch_execz .LBB18_86
; %bb.85:
	s_waitcnt vmcnt(2)
	v_mov_b32_e32 v2, v6
	v_mov_b32_e32 v1, v5
	s_orn2_b32 s2, vcc_lo, exec_lo
.LBB18_86:
	s_or_b32 exec_lo, exec_lo, s0
                                        ; implicit-def: $vgpr5_vgpr6
.LBB18_87:
	s_andn2_saveexec_b32 s0, s3
	s_cbranch_execz .LBB18_89
; %bb.88:
	s_waitcnt vmcnt(2)
	v_cmp_lt_f32_e32 vcc_lo, v5, v1
	s_or_b32 s2, s2, exec_lo
	v_cndmask_b32_e32 v1, v1, v5, vcc_lo
	v_cmp_lt_f32_e32 vcc_lo, v2, v6
	v_cndmask_b32_e32 v2, v2, v6, vcc_lo
.LBB18_89:
	s_or_b32 exec_lo, exec_lo, s0
	s_waitcnt vmcnt(1)
	v_and_b32_e32 v5, 1, v33
	v_cmp_eq_u32_e32 vcc_lo, 1, v5
                                        ; implicit-def: $vgpr5
	s_and_b32 s0, s2, vcc_lo
	s_xor_b32 s0, s0, -1
	s_and_saveexec_b32 s3, s0
	s_xor_b32 s0, exec_lo, s3
	s_cbranch_execz .LBB18_93
; %bb.90:
	v_mov_b32_e32 v5, 1
	s_xor_b32 s3, s2, -1
	s_and_saveexec_b32 s2, s3
	s_cbranch_execz .LBB18_92
; %bb.91:
	s_waitcnt vmcnt(0)
	v_mov_b32_e32 v2, v4
	v_mov_b32_e32 v1, v3
	;; [unrolled: 1-line block ×3, first 2 shown]
.LBB18_92:
	s_or_b32 exec_lo, exec_lo, s2
                                        ; implicit-def: $vgpr3_vgpr4
.LBB18_93:
	s_andn2_saveexec_b32 s0, s0
	s_cbranch_execz .LBB18_95
; %bb.94:
	s_waitcnt vmcnt(0)
	v_cmp_lt_f32_e32 vcc_lo, v3, v1
	v_mov_b32_e32 v5, 1
	v_cndmask_b32_e32 v1, v1, v3, vcc_lo
	v_cmp_lt_f32_e32 vcc_lo, v2, v4
	v_cndmask_b32_e32 v2, v2, v4, vcc_lo
.LBB18_95:
	s_or_b32 exec_lo, exec_lo, s0
	v_and_b32_e32 v7, 0xff, v5
	s_waitcnt vmcnt(0)
	v_and_b32_e32 v4, 1, v5
                                        ; implicit-def: $vgpr6
	v_mov_b32_dpp v3, v7 quad_perm:[1,0,3,2] row_mask:0xf bank_mask:0xf
	v_cmp_eq_u32_e64 s0, 1, v4
	v_mov_b32_dpp v4, v2 quad_perm:[1,0,3,2] row_mask:0xf bank_mask:0xf
	v_and_b32_e32 v3, 1, v3
	v_cmp_eq_u32_e32 vcc_lo, 1, v3
	v_mov_b32_dpp v3, v1 quad_perm:[1,0,3,2] row_mask:0xf bank_mask:0xf
	s_and_b32 s0, vcc_lo, s0
	s_xor_b32 s0, s0, -1
	s_and_saveexec_b32 s2, s0
	s_xor_b32 s0, exec_lo, s2
	s_cbranch_execz .LBB18_99
; %bb.96:
	v_mov_b32_e32 v6, 1
	s_xor_b32 s3, vcc_lo, -1
	s_and_saveexec_b32 s2, s3
; %bb.97:
	v_mov_b32_e32 v4, v2
	v_mov_b32_e32 v3, v1
	;; [unrolled: 1-line block ×3, first 2 shown]
; %bb.98:
	s_or_b32 exec_lo, exec_lo, s2
                                        ; implicit-def: $vgpr1
.LBB18_99:
	s_andn2_saveexec_b32 s0, s0
; %bb.100:
	v_cmp_lt_f32_e32 vcc_lo, v1, v3
	v_mov_b32_e32 v6, 1
	v_cndmask_b32_e32 v3, v3, v1, vcc_lo
	v_cmp_gt_f32_e32 vcc_lo, v2, v4
	v_cndmask_b32_e32 v4, v4, v2, vcc_lo
; %bb.101:
	s_or_b32 exec_lo, exec_lo, s0
	v_mov_b32_dpp v1, v6 quad_perm:[2,3,0,1] row_mask:0xf bank_mask:0xf
	v_mov_b32_dpp v5, v4 quad_perm:[2,3,0,1] row_mask:0xf bank_mask:0xf
	v_and_b32_e32 v2, v1, v6
	v_and_b32_e32 v7, 1, v1
	v_mov_b32_dpp v1, v3 quad_perm:[2,3,0,1] row_mask:0xf bank_mask:0xf
	v_and_b32_e32 v2, 1, v2
	v_cmp_ne_u32_e32 vcc_lo, 1, v7
                                        ; implicit-def: $vgpr7
	v_cmp_ne_u32_e64 s0, 1, v2
	s_and_saveexec_b32 s2, s0
	s_xor_b32 s0, exec_lo, s2
	s_cbranch_execz .LBB18_105
; %bb.102:
	v_mov_b32_e32 v7, 1
	s_and_saveexec_b32 s2, vcc_lo
; %bb.103:
	v_mov_b32_e32 v5, v4
	v_mov_b32_e32 v1, v3
	;; [unrolled: 1-line block ×3, first 2 shown]
; %bb.104:
	s_or_b32 exec_lo, exec_lo, s2
                                        ; implicit-def: $vgpr3
                                        ; implicit-def: $vgpr4
.LBB18_105:
	s_andn2_saveexec_b32 s0, s0
; %bb.106:
	v_cmp_lt_f32_e32 vcc_lo, v3, v1
	v_mov_b32_e32 v7, 1
	v_cndmask_b32_e32 v1, v1, v3, vcc_lo
	v_cmp_gt_f32_e32 vcc_lo, v4, v5
	v_cndmask_b32_e32 v5, v5, v4, vcc_lo
; %bb.107:
	s_or_b32 exec_lo, exec_lo, s0
	v_mov_b32_dpp v2, v7 row_ror:4 row_mask:0xf bank_mask:0xf
	v_and_b32_e32 v3, v2, v7
	v_and_b32_e32 v4, 1, v2
	v_mov_b32_dpp v2, v1 row_ror:4 row_mask:0xf bank_mask:0xf
	v_and_b32_e32 v6, 1, v3
	v_mov_b32_dpp v3, v5 row_ror:4 row_mask:0xf bank_mask:0xf
	v_cmp_ne_u32_e32 vcc_lo, 1, v4
	v_cmp_ne_u32_e64 s0, 1, v6
                                        ; implicit-def: $vgpr6
	s_and_saveexec_b32 s2, s0
	s_xor_b32 s0, exec_lo, s2
	s_cbranch_execz .LBB18_111
; %bb.108:
	v_mov_b32_e32 v6, 1
	s_and_saveexec_b32 s2, vcc_lo
; %bb.109:
	v_mov_b32_e32 v3, v5
	v_mov_b32_e32 v2, v1
	;; [unrolled: 1-line block ×3, first 2 shown]
; %bb.110:
	s_or_b32 exec_lo, exec_lo, s2
                                        ; implicit-def: $vgpr1
                                        ; implicit-def: $vgpr5
.LBB18_111:
	s_andn2_saveexec_b32 s0, s0
; %bb.112:
	v_cmp_lt_f32_e32 vcc_lo, v1, v2
	v_mov_b32_e32 v6, 1
	v_cndmask_b32_e32 v2, v2, v1, vcc_lo
	v_cmp_gt_f32_e32 vcc_lo, v5, v3
	v_cndmask_b32_e32 v3, v3, v5, vcc_lo
; %bb.113:
	s_or_b32 exec_lo, exec_lo, s0
	v_mov_b32_dpp v1, v6 row_ror:8 row_mask:0xf bank_mask:0xf
	v_and_b32_e32 v4, v1, v6
	v_and_b32_e32 v5, 1, v1
	v_mov_b32_dpp v1, v2 row_ror:8 row_mask:0xf bank_mask:0xf
	v_and_b32_e32 v7, 1, v4
	v_mov_b32_dpp v4, v3 row_ror:8 row_mask:0xf bank_mask:0xf
	v_cmp_ne_u32_e32 vcc_lo, 1, v5
                                        ; implicit-def: $vgpr5
	v_cmp_ne_u32_e64 s0, 1, v7
	s_and_saveexec_b32 s2, s0
	s_xor_b32 s0, exec_lo, s2
	s_cbranch_execz .LBB18_117
; %bb.114:
	v_mov_b32_e32 v5, 1
	s_and_saveexec_b32 s2, vcc_lo
; %bb.115:
	v_mov_b32_e32 v4, v3
	v_mov_b32_e32 v1, v2
	;; [unrolled: 1-line block ×3, first 2 shown]
; %bb.116:
	s_or_b32 exec_lo, exec_lo, s2
                                        ; implicit-def: $vgpr2
                                        ; implicit-def: $vgpr3
.LBB18_117:
	s_andn2_saveexec_b32 s0, s0
; %bb.118:
	v_cmp_lt_f32_e32 vcc_lo, v2, v1
	v_mov_b32_e32 v5, 1
	v_cndmask_b32_e32 v1, v1, v2, vcc_lo
	v_cmp_gt_f32_e32 vcc_lo, v3, v4
	v_cndmask_b32_e32 v4, v4, v3, vcc_lo
; %bb.119:
	s_or_b32 exec_lo, exec_lo, s0
	ds_swizzle_b32 v6, v5 offset:swizzle(BROADCAST,32,15)
	ds_swizzle_b32 v3, v1 offset:swizzle(BROADCAST,32,15)
	;; [unrolled: 1-line block ×3, first 2 shown]
	s_waitcnt lgkmcnt(2)
	v_and_b32_e32 v7, v6, v5
	v_and_b32_e32 v6, 1, v6
	;; [unrolled: 1-line block ×3, first 2 shown]
	v_cmp_ne_u32_e32 vcc_lo, 1, v6
                                        ; implicit-def: $vgpr6
	v_cmp_ne_u32_e64 s0, 1, v7
	s_and_saveexec_b32 s2, s0
	s_xor_b32 s0, exec_lo, s2
	s_cbranch_execz .LBB18_123
; %bb.120:
	v_mov_b32_e32 v6, 1
	s_and_saveexec_b32 s2, vcc_lo
	s_cbranch_execz .LBB18_122
; %bb.121:
	s_waitcnt lgkmcnt(0)
	v_mov_b32_e32 v2, v4
	v_mov_b32_e32 v3, v1
	;; [unrolled: 1-line block ×3, first 2 shown]
.LBB18_122:
	s_or_b32 exec_lo, exec_lo, s2
                                        ; implicit-def: $vgpr1
                                        ; implicit-def: $vgpr4
.LBB18_123:
	s_andn2_saveexec_b32 s0, s0
	s_cbranch_execz .LBB18_125
; %bb.124:
	s_waitcnt lgkmcnt(1)
	v_cmp_lt_f32_e32 vcc_lo, v1, v3
	v_mov_b32_e32 v6, 1
	v_cndmask_b32_e32 v3, v3, v1, vcc_lo
	s_waitcnt lgkmcnt(0)
	v_cmp_gt_f32_e32 vcc_lo, v4, v2
	v_cndmask_b32_e32 v2, v2, v4, vcc_lo
.LBB18_125:
	s_or_b32 exec_lo, exec_lo, s0
	v_mov_b32_e32 v4, 0
	s_mov_b32 s0, exec_lo
	ds_bpermute_b32 v33, v4, v6 offset:124
	s_waitcnt lgkmcnt(2)
	ds_bpermute_b32 v1, v4, v3 offset:124
	s_waitcnt lgkmcnt(2)
	ds_bpermute_b32 v2, v4, v2 offset:124
	v_mbcnt_lo_u32_b32 v3, -1, 0
	v_cmpx_eq_u32_e32 0, v3
	s_cbranch_execz .LBB18_127
; %bb.126:
	v_lshrrev_b32_e32 v4, 5, v0
	v_mul_u32_u24_e32 v4, 12, v4
	s_waitcnt lgkmcnt(2)
	ds_write_b8 v4, v33 offset:96
	s_waitcnt lgkmcnt(1)
	ds_write2_b32 v4, v1, v2 offset0:25 offset1:26
.LBB18_127:
	s_or_b32 exec_lo, exec_lo, s0
	s_mov_b32 s0, exec_lo
	s_waitcnt lgkmcnt(0)
	s_barrier
	buffer_gl0_inv
	v_cmpx_gt_u32_e32 32, v0
	s_cbranch_execz .LBB18_147
; %bb.128:
	v_and_b32_e32 v5, 7, v3
	s_mov_b32 s2, exec_lo
	v_mul_u32_u24_e32 v1, 12, v5
	v_cmp_ne_u32_e32 vcc_lo, 7, v5
	ds_read_u8 v9, v1 offset:96
	v_add_co_ci_u32_e64 v4, null, 0, v3, vcc_lo
	ds_read2_b32 v[1:2], v1 offset0:25 offset1:26
	v_lshlrev_b32_e32 v4, 2, v4
	s_waitcnt lgkmcnt(1)
	v_and_b32_e32 v6, 0xff, v9
	ds_bpermute_b32 v7, v4, v6
	s_waitcnt lgkmcnt(1)
	ds_bpermute_b32 v6, v4, v1
	ds_bpermute_b32 v4, v4, v2
	s_waitcnt lgkmcnt(2)
	v_and_b32_e32 v8, v9, v7
	v_and_b32_e32 v8, 1, v8
	v_cmpx_eq_u32_e32 1, v8
	s_xor_b32 s2, exec_lo, s2
	s_cbranch_execz .LBB18_130
; %bb.129:
	s_waitcnt lgkmcnt(1)
	v_cmp_gt_f32_e32 vcc_lo, v1, v6
                                        ; implicit-def: $vgpr7
                                        ; implicit-def: $vgpr9
	v_cndmask_b32_e32 v6, v1, v6, vcc_lo
	s_waitcnt lgkmcnt(0)
	v_cmp_lt_f32_e32 vcc_lo, v2, v4
	v_cndmask_b32_e32 v4, v2, v4, vcc_lo
                                        ; implicit-def: $vgpr2
.LBB18_130:
	s_or_saveexec_b32 s2, s2
	v_mov_b32_e32 v8, 1
	s_xor_b32 exec_lo, exec_lo, s2
	s_cbranch_execz .LBB18_134
; %bb.131:
	v_and_b32_e32 v8, 1, v9
	s_mov_b32 s3, exec_lo
	v_cmpx_eq_u32_e32 1, v8
	s_cbranch_execz .LBB18_133
; %bb.132:
	v_mov_b32_e32 v7, 1
	s_waitcnt lgkmcnt(0)
	v_mov_b32_e32 v4, v2
	v_mov_b32_e32 v6, v1
.LBB18_133:
	s_or_b32 exec_lo, exec_lo, s3
	v_mov_b32_e32 v8, v7
.LBB18_134:
	s_or_b32 exec_lo, exec_lo, s2
	v_cmp_gt_u32_e32 vcc_lo, 6, v5
	v_and_b32_e32 v2, 0xff, v8
	s_mov_b32 s2, exec_lo
	v_cndmask_b32_e64 v1, 0, 2, vcc_lo
	v_add_lshl_u32 v5, v1, v3, 2
	ds_bpermute_b32 v1, v5, v2
	s_waitcnt lgkmcnt(2)
	ds_bpermute_b32 v7, v5, v6
	s_waitcnt lgkmcnt(2)
	;; [unrolled: 2-line block ×3, first 2 shown]
	v_and_b32_e32 v2, v8, v1
	v_and_b32_e32 v2, 1, v2
	v_cmpx_eq_u32_e32 1, v2
	s_xor_b32 s2, exec_lo, s2
	s_cbranch_execz .LBB18_136
; %bb.135:
	s_waitcnt lgkmcnt(1)
	v_cmp_gt_f32_e32 vcc_lo, v6, v7
                                        ; implicit-def: $vgpr1
                                        ; implicit-def: $vgpr8
	v_cndmask_b32_e32 v7, v6, v7, vcc_lo
	s_waitcnt lgkmcnt(0)
	v_cmp_lt_f32_e32 vcc_lo, v4, v5
                                        ; implicit-def: $vgpr6
	v_cndmask_b32_e32 v5, v4, v5, vcc_lo
                                        ; implicit-def: $vgpr4
.LBB18_136:
	s_or_saveexec_b32 s2, s2
	v_lshlrev_b32_e32 v2, 2, v3
	v_mov_b32_e32 v9, 1
	s_xor_b32 exec_lo, exec_lo, s2
	s_cbranch_execz .LBB18_140
; %bb.137:
	v_and_b32_e32 v3, 1, v8
	s_mov_b32 s3, exec_lo
	v_cmpx_eq_u32_e32 1, v3
	s_cbranch_execz .LBB18_139
; %bb.138:
	v_mov_b32_e32 v1, 1
	s_waitcnt lgkmcnt(0)
	v_mov_b32_e32 v5, v4
	v_mov_b32_e32 v7, v6
.LBB18_139:
	s_or_b32 exec_lo, exec_lo, s3
	v_mov_b32_e32 v9, v1
.LBB18_140:
	s_or_b32 exec_lo, exec_lo, s2
	v_and_b32_e32 v1, 0xff, v9
	v_or_b32_e32 v2, 16, v2
	s_mov_b32 s2, exec_lo
	ds_bpermute_b32 v3, v2, v1
	s_waitcnt lgkmcnt(2)
	ds_bpermute_b32 v1, v2, v7
	s_waitcnt lgkmcnt(2)
	;; [unrolled: 2-line block ×3, first 2 shown]
	v_and_b32_e32 v4, v9, v3
	v_and_b32_e32 v4, 1, v4
	v_cmpx_eq_u32_e32 1, v4
	s_xor_b32 s2, exec_lo, s2
	s_cbranch_execz .LBB18_142
; %bb.141:
	s_waitcnt lgkmcnt(1)
	v_cmp_gt_f32_e32 vcc_lo, v7, v1
                                        ; implicit-def: $vgpr3
                                        ; implicit-def: $vgpr9
	v_cndmask_b32_e32 v1, v7, v1, vcc_lo
	s_waitcnt lgkmcnt(0)
	v_cmp_lt_f32_e32 vcc_lo, v5, v2
                                        ; implicit-def: $vgpr7
	v_cndmask_b32_e32 v2, v5, v2, vcc_lo
                                        ; implicit-def: $vgpr5
.LBB18_142:
	s_or_saveexec_b32 s2, s2
	v_mov_b32_e32 v33, 1
	s_xor_b32 exec_lo, exec_lo, s2
	s_cbranch_execz .LBB18_146
; %bb.143:
	v_and_b32_e32 v4, 1, v9
	s_mov_b32 s3, exec_lo
	v_cmpx_eq_u32_e32 1, v4
	s_cbranch_execz .LBB18_145
; %bb.144:
	v_mov_b32_e32 v3, 1
	s_waitcnt lgkmcnt(0)
	v_mov_b32_e32 v2, v5
	v_mov_b32_e32 v1, v7
.LBB18_145:
	s_or_b32 exec_lo, exec_lo, s3
	v_mov_b32_e32 v33, v3
.LBB18_146:
	s_or_b32 exec_lo, exec_lo, s2
.LBB18_147:
	s_or_b32 exec_lo, exec_lo, s0
	s_mov_b32 s0, 0
	s_branch .LBB18_251
.LBB18_148:
	s_mov_b32 s12, 0
                                        ; implicit-def: $vgpr4
                                        ; implicit-def: $vgpr6
	s_cbranch_execnz .LBB18_821
	s_branch .LBB18_1032
.LBB18_149:
	s_mov_b32 s12, 0
                                        ; implicit-def: $vgpr4
                                        ; implicit-def: $vgpr6
	s_cbranch_execnz .LBB18_635
	s_branch .LBB18_709
.LBB18_150:
	s_mov_b32 s28, -1
.LBB18_151:
	s_mov_b32 s12, 0
                                        ; implicit-def: $vgpr4
                                        ; implicit-def: $vgpr6
	s_and_b32 vcc_lo, exec_lo, s28
	s_cbranch_vccz .LBB18_506
.LBB18_152:
	s_cmp_eq_u32 s27, 8
	s_cbranch_scc0 .LBB18_249
; %bb.153:
	s_lshl_b32 s1, s6, 11
	s_mul_i32 s0, s6, 0x6000
	s_lshr_b64 s[2:3], s[22:23], 11
	s_mul_hi_u32 s8, s1, 12
	s_mov_b32 s7, 0
	s_add_u32 s10, s20, s0
	s_addc_u32 s11, s21, s8
	s_cmp_lg_u64 s[2:3], s[6:7]
	s_cbranch_scc0 .LBB18_298
; %bb.154:
	s_waitcnt lgkmcnt(1)
	v_mad_u64_u32 v[3:4], null, v0, 12, s[10:11]
	s_mov_b32 s0, exec_lo
	s_waitcnt lgkmcnt(0)
	v_add_co_u32 v5, vcc_lo, 0x800, v3
	v_add_co_ci_u32_e64 v6, null, 0, v4, vcc_lo
	v_add_co_u32 v7, vcc_lo, 0x1800, v3
	v_add_co_ci_u32_e64 v8, null, 0, v4, vcc_lo
	;; [unrolled: 2-line block ×3, first 2 shown]
	s_clause 0x7
	global_load_ubyte v24, v[3:4], off
	global_load_dwordx2 v[1:2], v[3:4], off offset:4
	global_load_ubyte v23, v[5:6], off offset:1024
	global_load_dwordx2 v[15:16], v[5:6], off offset:1028
	global_load_ubyte v22, v[7:8], off
	global_load_dwordx2 v[13:14], v[7:8], off offset:4
	global_load_ubyte v21, v[9:10], off offset:1024
	global_load_dwordx2 v[11:12], v[9:10], off offset:1028
	v_add_co_u32 v5, vcc_lo, 0x3000, v3
	v_add_co_ci_u32_e64 v6, null, 0, v4, vcc_lo
	v_add_co_u32 v7, vcc_lo, 0x3800, v3
	v_add_co_ci_u32_e64 v8, null, 0, v4, vcc_lo
	;; [unrolled: 2-line block ×4, first 2 shown]
	s_clause 0x7
	global_load_ubyte v20, v[5:6], off
	global_load_dwordx2 v[9:10], v[5:6], off offset:4
	global_load_ubyte v19, v[7:8], off offset:1024
	global_load_dwordx2 v[7:8], v[7:8], off offset:1028
	global_load_ubyte v18, v[25:26], off
	global_load_dwordx2 v[5:6], v[25:26], off offset:4
	global_load_ubyte v17, v[3:4], off offset:1024
	global_load_dwordx2 v[3:4], v[3:4], off offset:1028
	s_waitcnt vmcnt(13)
	v_and_b32_e32 v25, v23, v24
	v_and_b32_e32 v25, 1, v25
	v_cmpx_eq_u32_e32 1, v25
	s_xor_b32 s0, exec_lo, s0
	s_cbranch_execz .LBB18_156
; %bb.155:
	s_waitcnt vmcnt(12)
	v_cmp_lt_f32_e32 vcc_lo, v15, v1
                                        ; implicit-def: $vgpr24
                                        ; implicit-def: $vgpr23
	v_cndmask_b32_e32 v1, v1, v15, vcc_lo
	v_cmp_lt_f32_e32 vcc_lo, v2, v16
	v_cndmask_b32_e32 v2, v2, v16, vcc_lo
                                        ; implicit-def: $vgpr16
.LBB18_156:
	s_or_saveexec_b32 s0, s0
	s_mov_b32 s3, -1
	s_xor_b32 exec_lo, exec_lo, s0
	s_cbranch_execz .LBB18_160
; %bb.157:
	v_and_b32_e32 v24, 1, v24
	s_mov_b32 s2, -1
	v_cmp_eq_u32_e32 vcc_lo, 1, v24
	s_xor_b32 s8, vcc_lo, -1
	s_and_saveexec_b32 s3, s8
	s_cbranch_execz .LBB18_159
; %bb.158:
	v_and_b32_e32 v1, 1, v23
	s_waitcnt vmcnt(12)
	v_mov_b32_e32 v2, v16
	v_cmp_eq_u32_e32 vcc_lo, 1, v1
	v_mov_b32_e32 v1, v15
	s_orn2_b32 s2, vcc_lo, exec_lo
.LBB18_159:
	s_or_b32 exec_lo, exec_lo, s3
	s_orn2_b32 s3, s2, exec_lo
.LBB18_160:
	s_or_b32 exec_lo, exec_lo, s0
	s_waitcnt vmcnt(11)
	v_and_b32_e32 v15, 1, v22
                                        ; implicit-def: $sgpr2
	v_cmp_eq_u32_e32 vcc_lo, 1, v15
	s_and_b32 s0, s3, vcc_lo
	s_xor_b32 s0, s0, -1
	s_and_saveexec_b32 s8, s0
	s_xor_b32 s0, exec_lo, s8
	s_cbranch_execz .LBB18_164
; %bb.161:
	s_xor_b32 s8, s3, -1
	s_mov_b32 s2, -1
	s_and_saveexec_b32 s3, s8
	s_cbranch_execz .LBB18_163
; %bb.162:
	s_waitcnt vmcnt(10)
	v_mov_b32_e32 v2, v14
	v_mov_b32_e32 v1, v13
	s_orn2_b32 s2, vcc_lo, exec_lo
.LBB18_163:
	s_or_b32 exec_lo, exec_lo, s3
                                        ; implicit-def: $vgpr13_vgpr14
.LBB18_164:
	s_andn2_saveexec_b32 s0, s0
	s_cbranch_execz .LBB18_166
; %bb.165:
	s_waitcnt vmcnt(10)
	v_cmp_lt_f32_e32 vcc_lo, v13, v1
	s_or_b32 s2, s2, exec_lo
	v_cndmask_b32_e32 v1, v1, v13, vcc_lo
	v_cmp_lt_f32_e32 vcc_lo, v2, v14
	v_cndmask_b32_e32 v2, v2, v14, vcc_lo
.LBB18_166:
	s_or_b32 exec_lo, exec_lo, s0
	s_waitcnt vmcnt(9)
	v_and_b32_e32 v13, 1, v21
	s_mov_b32 s0, -1
	v_cmp_eq_u32_e32 vcc_lo, 1, v13
	s_and_b32 s3, s2, vcc_lo
	s_xor_b32 s3, s3, -1
	s_and_saveexec_b32 s8, s3
	s_xor_b32 s3, exec_lo, s8
	s_cbranch_execz .LBB18_170
; %bb.167:
	s_xor_b32 s8, s2, -1
	s_and_saveexec_b32 s2, s8
	s_cbranch_execz .LBB18_169
; %bb.168:
	s_waitcnt vmcnt(8)
	v_mov_b32_e32 v2, v12
	v_mov_b32_e32 v1, v11
	s_orn2_b32 s0, vcc_lo, exec_lo
.LBB18_169:
	s_or_b32 exec_lo, exec_lo, s2
                                        ; implicit-def: $vgpr11_vgpr12
.LBB18_170:
	s_andn2_saveexec_b32 s2, s3
	s_cbranch_execz .LBB18_172
; %bb.171:
	s_waitcnt vmcnt(8)
	v_cmp_lt_f32_e32 vcc_lo, v11, v1
	s_or_b32 s0, s0, exec_lo
	v_cndmask_b32_e32 v1, v1, v11, vcc_lo
	v_cmp_lt_f32_e32 vcc_lo, v2, v12
	v_cndmask_b32_e32 v2, v2, v12, vcc_lo
.LBB18_172:
	s_or_b32 exec_lo, exec_lo, s2
	s_waitcnt vmcnt(7)
	v_and_b32_e32 v11, 1, v20
	s_mov_b32 s2, -1
	v_cmp_eq_u32_e32 vcc_lo, 1, v11
	s_and_b32 s3, s0, vcc_lo
	s_xor_b32 s3, s3, -1
	s_and_saveexec_b32 s8, s3
	s_xor_b32 s3, exec_lo, s8
	s_cbranch_execz .LBB18_176
; %bb.173:
	s_xor_b32 s8, s0, -1
	s_and_saveexec_b32 s0, s8
	s_cbranch_execz .LBB18_175
; %bb.174:
	s_waitcnt vmcnt(6)
	v_mov_b32_e32 v2, v10
	v_mov_b32_e32 v1, v9
	s_orn2_b32 s2, vcc_lo, exec_lo
.LBB18_175:
	s_or_b32 exec_lo, exec_lo, s0
                                        ; implicit-def: $vgpr9_vgpr10
.LBB18_176:
	s_andn2_saveexec_b32 s0, s3
	s_cbranch_execz .LBB18_178
; %bb.177:
	s_waitcnt vmcnt(6)
	v_cmp_lt_f32_e32 vcc_lo, v9, v1
	s_or_b32 s2, s2, exec_lo
	v_cndmask_b32_e32 v1, v1, v9, vcc_lo
	v_cmp_lt_f32_e32 vcc_lo, v2, v10
	v_cndmask_b32_e32 v2, v2, v10, vcc_lo
.LBB18_178:
	s_or_b32 exec_lo, exec_lo, s0
	s_waitcnt vmcnt(5)
	v_and_b32_e32 v9, 1, v19
	s_mov_b32 s0, -1
	v_cmp_eq_u32_e32 vcc_lo, 1, v9
	s_and_b32 s3, s2, vcc_lo
	s_xor_b32 s3, s3, -1
	s_and_saveexec_b32 s8, s3
	s_xor_b32 s3, exec_lo, s8
	s_cbranch_execz .LBB18_182
; %bb.179:
	s_xor_b32 s8, s2, -1
	s_and_saveexec_b32 s2, s8
	s_cbranch_execz .LBB18_181
; %bb.180:
	s_waitcnt vmcnt(4)
	v_mov_b32_e32 v2, v8
	v_mov_b32_e32 v1, v7
	s_orn2_b32 s0, vcc_lo, exec_lo
.LBB18_181:
	s_or_b32 exec_lo, exec_lo, s2
                                        ; implicit-def: $vgpr7_vgpr8
.LBB18_182:
	s_andn2_saveexec_b32 s2, s3
	s_cbranch_execz .LBB18_184
; %bb.183:
	s_waitcnt vmcnt(4)
	v_cmp_lt_f32_e32 vcc_lo, v7, v1
	s_or_b32 s0, s0, exec_lo
	v_cndmask_b32_e32 v1, v1, v7, vcc_lo
	v_cmp_lt_f32_e32 vcc_lo, v2, v8
	v_cndmask_b32_e32 v2, v2, v8, vcc_lo
.LBB18_184:
	s_or_b32 exec_lo, exec_lo, s2
	s_waitcnt vmcnt(3)
	v_and_b32_e32 v7, 1, v18
	s_mov_b32 s2, -1
	v_cmp_eq_u32_e32 vcc_lo, 1, v7
	s_and_b32 s3, s0, vcc_lo
	s_xor_b32 s3, s3, -1
	s_and_saveexec_b32 s8, s3
	s_xor_b32 s3, exec_lo, s8
	s_cbranch_execz .LBB18_188
; %bb.185:
	s_xor_b32 s8, s0, -1
	s_and_saveexec_b32 s0, s8
	s_cbranch_execz .LBB18_187
; %bb.186:
	s_waitcnt vmcnt(2)
	v_mov_b32_e32 v2, v6
	v_mov_b32_e32 v1, v5
	s_orn2_b32 s2, vcc_lo, exec_lo
.LBB18_187:
	s_or_b32 exec_lo, exec_lo, s0
                                        ; implicit-def: $vgpr5_vgpr6
.LBB18_188:
	s_andn2_saveexec_b32 s0, s3
	s_cbranch_execz .LBB18_190
; %bb.189:
	s_waitcnt vmcnt(2)
	v_cmp_lt_f32_e32 vcc_lo, v5, v1
	s_or_b32 s2, s2, exec_lo
	v_cndmask_b32_e32 v1, v1, v5, vcc_lo
	v_cmp_lt_f32_e32 vcc_lo, v2, v6
	v_cndmask_b32_e32 v2, v2, v6, vcc_lo
.LBB18_190:
	s_or_b32 exec_lo, exec_lo, s0
	s_waitcnt vmcnt(1)
	v_and_b32_e32 v5, 1, v17
	v_cmp_eq_u32_e32 vcc_lo, 1, v5
                                        ; implicit-def: $vgpr5
	s_and_b32 s0, s2, vcc_lo
	s_xor_b32 s0, s0, -1
	s_and_saveexec_b32 s3, s0
	s_xor_b32 s0, exec_lo, s3
	s_cbranch_execz .LBB18_194
; %bb.191:
	v_mov_b32_e32 v5, 1
	s_xor_b32 s3, s2, -1
	s_and_saveexec_b32 s2, s3
	s_cbranch_execz .LBB18_193
; %bb.192:
	s_waitcnt vmcnt(0)
	v_mov_b32_e32 v2, v4
	v_mov_b32_e32 v1, v3
	;; [unrolled: 1-line block ×3, first 2 shown]
.LBB18_193:
	s_or_b32 exec_lo, exec_lo, s2
                                        ; implicit-def: $vgpr3_vgpr4
.LBB18_194:
	s_andn2_saveexec_b32 s0, s0
	s_cbranch_execz .LBB18_196
; %bb.195:
	s_waitcnt vmcnt(0)
	v_cmp_lt_f32_e32 vcc_lo, v3, v1
	v_mov_b32_e32 v5, 1
	v_cndmask_b32_e32 v1, v1, v3, vcc_lo
	v_cmp_lt_f32_e32 vcc_lo, v2, v4
	v_cndmask_b32_e32 v2, v2, v4, vcc_lo
.LBB18_196:
	s_or_b32 exec_lo, exec_lo, s0
	v_and_b32_e32 v7, 0xff, v5
	s_waitcnt vmcnt(0)
	v_and_b32_e32 v4, 1, v5
                                        ; implicit-def: $vgpr6
	v_mov_b32_dpp v3, v7 quad_perm:[1,0,3,2] row_mask:0xf bank_mask:0xf
	v_cmp_eq_u32_e64 s0, 1, v4
	v_mov_b32_dpp v4, v2 quad_perm:[1,0,3,2] row_mask:0xf bank_mask:0xf
	v_and_b32_e32 v3, 1, v3
	v_cmp_eq_u32_e32 vcc_lo, 1, v3
	v_mov_b32_dpp v3, v1 quad_perm:[1,0,3,2] row_mask:0xf bank_mask:0xf
	s_and_b32 s0, vcc_lo, s0
	s_xor_b32 s0, s0, -1
	s_and_saveexec_b32 s2, s0
	s_xor_b32 s0, exec_lo, s2
	s_cbranch_execz .LBB18_200
; %bb.197:
	v_mov_b32_e32 v6, 1
	s_xor_b32 s3, vcc_lo, -1
	s_and_saveexec_b32 s2, s3
; %bb.198:
	v_mov_b32_e32 v4, v2
	v_mov_b32_e32 v3, v1
	;; [unrolled: 1-line block ×3, first 2 shown]
; %bb.199:
	s_or_b32 exec_lo, exec_lo, s2
                                        ; implicit-def: $vgpr1
.LBB18_200:
	s_andn2_saveexec_b32 s0, s0
; %bb.201:
	v_cmp_lt_f32_e32 vcc_lo, v1, v3
	v_mov_b32_e32 v6, 1
	v_cndmask_b32_e32 v3, v3, v1, vcc_lo
	v_cmp_gt_f32_e32 vcc_lo, v2, v4
	v_cndmask_b32_e32 v4, v4, v2, vcc_lo
; %bb.202:
	s_or_b32 exec_lo, exec_lo, s0
	v_mov_b32_dpp v1, v6 quad_perm:[2,3,0,1] row_mask:0xf bank_mask:0xf
	v_mov_b32_dpp v5, v4 quad_perm:[2,3,0,1] row_mask:0xf bank_mask:0xf
	v_and_b32_e32 v2, v1, v6
	v_and_b32_e32 v7, 1, v1
	v_mov_b32_dpp v1, v3 quad_perm:[2,3,0,1] row_mask:0xf bank_mask:0xf
	v_and_b32_e32 v2, 1, v2
	v_cmp_ne_u32_e32 vcc_lo, 1, v7
                                        ; implicit-def: $vgpr7
	v_cmp_ne_u32_e64 s0, 1, v2
	s_and_saveexec_b32 s2, s0
	s_xor_b32 s0, exec_lo, s2
	s_cbranch_execz .LBB18_206
; %bb.203:
	v_mov_b32_e32 v7, 1
	s_and_saveexec_b32 s2, vcc_lo
; %bb.204:
	v_mov_b32_e32 v5, v4
	v_mov_b32_e32 v1, v3
	;; [unrolled: 1-line block ×3, first 2 shown]
; %bb.205:
	s_or_b32 exec_lo, exec_lo, s2
                                        ; implicit-def: $vgpr3
                                        ; implicit-def: $vgpr4
.LBB18_206:
	s_andn2_saveexec_b32 s0, s0
; %bb.207:
	v_cmp_lt_f32_e32 vcc_lo, v3, v1
	v_mov_b32_e32 v7, 1
	v_cndmask_b32_e32 v1, v1, v3, vcc_lo
	v_cmp_gt_f32_e32 vcc_lo, v4, v5
	v_cndmask_b32_e32 v5, v5, v4, vcc_lo
; %bb.208:
	s_or_b32 exec_lo, exec_lo, s0
	v_mov_b32_dpp v2, v7 row_ror:4 row_mask:0xf bank_mask:0xf
	v_and_b32_e32 v3, v2, v7
	v_and_b32_e32 v4, 1, v2
	v_mov_b32_dpp v2, v1 row_ror:4 row_mask:0xf bank_mask:0xf
	v_and_b32_e32 v6, 1, v3
	v_mov_b32_dpp v3, v5 row_ror:4 row_mask:0xf bank_mask:0xf
	v_cmp_ne_u32_e32 vcc_lo, 1, v4
	v_cmp_ne_u32_e64 s0, 1, v6
                                        ; implicit-def: $vgpr6
	s_and_saveexec_b32 s2, s0
	s_xor_b32 s0, exec_lo, s2
	s_cbranch_execz .LBB18_212
; %bb.209:
	v_mov_b32_e32 v6, 1
	s_and_saveexec_b32 s2, vcc_lo
; %bb.210:
	v_mov_b32_e32 v3, v5
	v_mov_b32_e32 v2, v1
	;; [unrolled: 1-line block ×3, first 2 shown]
; %bb.211:
	s_or_b32 exec_lo, exec_lo, s2
                                        ; implicit-def: $vgpr1
                                        ; implicit-def: $vgpr5
.LBB18_212:
	s_andn2_saveexec_b32 s0, s0
; %bb.213:
	v_cmp_lt_f32_e32 vcc_lo, v1, v2
	v_mov_b32_e32 v6, 1
	v_cndmask_b32_e32 v2, v2, v1, vcc_lo
	v_cmp_gt_f32_e32 vcc_lo, v5, v3
	v_cndmask_b32_e32 v3, v3, v5, vcc_lo
; %bb.214:
	s_or_b32 exec_lo, exec_lo, s0
	v_mov_b32_dpp v1, v6 row_ror:8 row_mask:0xf bank_mask:0xf
	v_and_b32_e32 v4, v1, v6
	v_and_b32_e32 v5, 1, v1
	v_mov_b32_dpp v1, v2 row_ror:8 row_mask:0xf bank_mask:0xf
	v_and_b32_e32 v7, 1, v4
	v_mov_b32_dpp v4, v3 row_ror:8 row_mask:0xf bank_mask:0xf
	v_cmp_ne_u32_e32 vcc_lo, 1, v5
                                        ; implicit-def: $vgpr5
	v_cmp_ne_u32_e64 s0, 1, v7
	s_and_saveexec_b32 s2, s0
	s_xor_b32 s0, exec_lo, s2
	s_cbranch_execz .LBB18_218
; %bb.215:
	v_mov_b32_e32 v5, 1
	s_and_saveexec_b32 s2, vcc_lo
; %bb.216:
	v_mov_b32_e32 v4, v3
	v_mov_b32_e32 v1, v2
	;; [unrolled: 1-line block ×3, first 2 shown]
; %bb.217:
	s_or_b32 exec_lo, exec_lo, s2
                                        ; implicit-def: $vgpr2
                                        ; implicit-def: $vgpr3
.LBB18_218:
	s_andn2_saveexec_b32 s0, s0
; %bb.219:
	v_cmp_lt_f32_e32 vcc_lo, v2, v1
	v_mov_b32_e32 v5, 1
	v_cndmask_b32_e32 v1, v1, v2, vcc_lo
	v_cmp_gt_f32_e32 vcc_lo, v3, v4
	v_cndmask_b32_e32 v4, v4, v3, vcc_lo
; %bb.220:
	s_or_b32 exec_lo, exec_lo, s0
	ds_swizzle_b32 v6, v5 offset:swizzle(BROADCAST,32,15)
	ds_swizzle_b32 v3, v1 offset:swizzle(BROADCAST,32,15)
	;; [unrolled: 1-line block ×3, first 2 shown]
	s_waitcnt lgkmcnt(2)
	v_and_b32_e32 v7, v6, v5
	v_and_b32_e32 v6, 1, v6
	;; [unrolled: 1-line block ×3, first 2 shown]
	v_cmp_ne_u32_e32 vcc_lo, 1, v6
                                        ; implicit-def: $vgpr6
	v_cmp_ne_u32_e64 s0, 1, v7
	s_and_saveexec_b32 s2, s0
	s_xor_b32 s0, exec_lo, s2
	s_cbranch_execz .LBB18_224
; %bb.221:
	v_mov_b32_e32 v6, 1
	s_and_saveexec_b32 s2, vcc_lo
	s_cbranch_execz .LBB18_223
; %bb.222:
	s_waitcnt lgkmcnt(0)
	v_mov_b32_e32 v2, v4
	v_mov_b32_e32 v3, v1
	;; [unrolled: 1-line block ×3, first 2 shown]
.LBB18_223:
	s_or_b32 exec_lo, exec_lo, s2
                                        ; implicit-def: $vgpr1
                                        ; implicit-def: $vgpr4
.LBB18_224:
	s_andn2_saveexec_b32 s0, s0
	s_cbranch_execz .LBB18_226
; %bb.225:
	s_waitcnt lgkmcnt(1)
	v_cmp_lt_f32_e32 vcc_lo, v1, v3
	v_mov_b32_e32 v6, 1
	v_cndmask_b32_e32 v3, v3, v1, vcc_lo
	s_waitcnt lgkmcnt(0)
	v_cmp_gt_f32_e32 vcc_lo, v4, v2
	v_cndmask_b32_e32 v2, v2, v4, vcc_lo
.LBB18_226:
	s_or_b32 exec_lo, exec_lo, s0
	v_mov_b32_e32 v4, 0
	s_mov_b32 s0, exec_lo
	ds_bpermute_b32 v17, v4, v6 offset:124
	s_waitcnt lgkmcnt(2)
	ds_bpermute_b32 v1, v4, v3 offset:124
	s_waitcnt lgkmcnt(2)
	ds_bpermute_b32 v2, v4, v2 offset:124
	v_mbcnt_lo_u32_b32 v3, -1, 0
	v_cmpx_eq_u32_e32 0, v3
	s_cbranch_execz .LBB18_228
; %bb.227:
	v_lshrrev_b32_e32 v4, 5, v0
	v_mul_u32_u24_e32 v4, 12, v4
	s_waitcnt lgkmcnt(2)
	ds_write_b8 v4, v17 offset:480
	s_waitcnt lgkmcnt(1)
	ds_write2_b32 v4, v1, v2 offset0:121 offset1:122
.LBB18_228:
	s_or_b32 exec_lo, exec_lo, s0
	s_mov_b32 s0, exec_lo
	s_waitcnt lgkmcnt(0)
	s_barrier
	buffer_gl0_inv
	v_cmpx_gt_u32_e32 32, v0
	s_cbranch_execz .LBB18_248
; %bb.229:
	v_and_b32_e32 v5, 7, v3
	s_mov_b32 s2, exec_lo
	v_mul_u32_u24_e32 v1, 12, v5
	v_cmp_ne_u32_e32 vcc_lo, 7, v5
	ds_read_u8 v9, v1 offset:480
	v_add_co_ci_u32_e64 v4, null, 0, v3, vcc_lo
	ds_read2_b32 v[1:2], v1 offset0:121 offset1:122
	v_lshlrev_b32_e32 v4, 2, v4
	s_waitcnt lgkmcnt(1)
	v_and_b32_e32 v6, 0xff, v9
	ds_bpermute_b32 v7, v4, v6
	s_waitcnt lgkmcnt(1)
	ds_bpermute_b32 v6, v4, v1
	ds_bpermute_b32 v4, v4, v2
	s_waitcnt lgkmcnt(2)
	v_and_b32_e32 v8, v9, v7
	v_and_b32_e32 v8, 1, v8
	v_cmpx_eq_u32_e32 1, v8
	s_xor_b32 s2, exec_lo, s2
	s_cbranch_execz .LBB18_231
; %bb.230:
	s_waitcnt lgkmcnt(1)
	v_cmp_gt_f32_e32 vcc_lo, v1, v6
                                        ; implicit-def: $vgpr7
                                        ; implicit-def: $vgpr9
	v_cndmask_b32_e32 v6, v1, v6, vcc_lo
	s_waitcnt lgkmcnt(0)
	v_cmp_lt_f32_e32 vcc_lo, v2, v4
	v_cndmask_b32_e32 v4, v2, v4, vcc_lo
                                        ; implicit-def: $vgpr2
.LBB18_231:
	s_or_saveexec_b32 s2, s2
	v_mov_b32_e32 v8, 1
	s_xor_b32 exec_lo, exec_lo, s2
	s_cbranch_execz .LBB18_235
; %bb.232:
	v_and_b32_e32 v8, 1, v9
	s_mov_b32 s3, exec_lo
	v_cmpx_eq_u32_e32 1, v8
	s_cbranch_execz .LBB18_234
; %bb.233:
	v_mov_b32_e32 v7, 1
	s_waitcnt lgkmcnt(0)
	v_mov_b32_e32 v4, v2
	v_mov_b32_e32 v6, v1
.LBB18_234:
	s_or_b32 exec_lo, exec_lo, s3
	v_mov_b32_e32 v8, v7
.LBB18_235:
	s_or_b32 exec_lo, exec_lo, s2
	v_cmp_gt_u32_e32 vcc_lo, 6, v5
	v_and_b32_e32 v2, 0xff, v8
	s_mov_b32 s2, exec_lo
	v_cndmask_b32_e64 v1, 0, 2, vcc_lo
	v_add_lshl_u32 v5, v1, v3, 2
	ds_bpermute_b32 v1, v5, v2
	s_waitcnt lgkmcnt(2)
	ds_bpermute_b32 v7, v5, v6
	s_waitcnt lgkmcnt(2)
	;; [unrolled: 2-line block ×3, first 2 shown]
	v_and_b32_e32 v2, v8, v1
	v_and_b32_e32 v2, 1, v2
	v_cmpx_eq_u32_e32 1, v2
	s_xor_b32 s2, exec_lo, s2
	s_cbranch_execz .LBB18_237
; %bb.236:
	s_waitcnt lgkmcnt(1)
	v_cmp_gt_f32_e32 vcc_lo, v6, v7
                                        ; implicit-def: $vgpr1
                                        ; implicit-def: $vgpr8
	v_cndmask_b32_e32 v7, v6, v7, vcc_lo
	s_waitcnt lgkmcnt(0)
	v_cmp_lt_f32_e32 vcc_lo, v4, v5
                                        ; implicit-def: $vgpr6
	v_cndmask_b32_e32 v5, v4, v5, vcc_lo
                                        ; implicit-def: $vgpr4
.LBB18_237:
	s_or_saveexec_b32 s2, s2
	v_lshlrev_b32_e32 v2, 2, v3
	v_mov_b32_e32 v9, 1
	s_xor_b32 exec_lo, exec_lo, s2
	s_cbranch_execz .LBB18_241
; %bb.238:
	v_and_b32_e32 v3, 1, v8
	s_mov_b32 s3, exec_lo
	v_cmpx_eq_u32_e32 1, v3
	s_cbranch_execz .LBB18_240
; %bb.239:
	v_mov_b32_e32 v1, 1
	s_waitcnt lgkmcnt(0)
	v_mov_b32_e32 v5, v4
	v_mov_b32_e32 v7, v6
.LBB18_240:
	s_or_b32 exec_lo, exec_lo, s3
	v_mov_b32_e32 v9, v1
.LBB18_241:
	s_or_b32 exec_lo, exec_lo, s2
	v_and_b32_e32 v1, 0xff, v9
	v_or_b32_e32 v2, 16, v2
	s_mov_b32 s2, exec_lo
	ds_bpermute_b32 v3, v2, v1
	s_waitcnt lgkmcnt(2)
	ds_bpermute_b32 v1, v2, v7
	s_waitcnt lgkmcnt(2)
	;; [unrolled: 2-line block ×3, first 2 shown]
	v_and_b32_e32 v4, v9, v3
	v_and_b32_e32 v4, 1, v4
	v_cmpx_eq_u32_e32 1, v4
	s_xor_b32 s2, exec_lo, s2
	s_cbranch_execz .LBB18_243
; %bb.242:
	s_waitcnt lgkmcnt(1)
	v_cmp_gt_f32_e32 vcc_lo, v7, v1
                                        ; implicit-def: $vgpr3
                                        ; implicit-def: $vgpr9
	v_cndmask_b32_e32 v1, v7, v1, vcc_lo
	s_waitcnt lgkmcnt(0)
	v_cmp_lt_f32_e32 vcc_lo, v5, v2
                                        ; implicit-def: $vgpr7
	v_cndmask_b32_e32 v2, v5, v2, vcc_lo
                                        ; implicit-def: $vgpr5
.LBB18_243:
	s_or_saveexec_b32 s2, s2
	v_mov_b32_e32 v17, 1
	s_xor_b32 exec_lo, exec_lo, s2
	s_cbranch_execz .LBB18_247
; %bb.244:
	v_and_b32_e32 v4, 1, v9
	s_mov_b32 s3, exec_lo
	v_cmpx_eq_u32_e32 1, v4
	s_cbranch_execz .LBB18_246
; %bb.245:
	v_mov_b32_e32 v3, 1
	s_waitcnt lgkmcnt(0)
	v_mov_b32_e32 v2, v5
	v_mov_b32_e32 v1, v7
.LBB18_246:
	s_or_b32 exec_lo, exec_lo, s3
	v_mov_b32_e32 v17, v3
.LBB18_247:
	s_or_b32 exec_lo, exec_lo, s2
.LBB18_248:
	s_or_b32 exec_lo, exec_lo, s0
	s_mov_b32 s0, 0
	s_branch .LBB18_299
.LBB18_249:
                                        ; implicit-def: $vgpr4
                                        ; implicit-def: $vgpr6
	s_branch .LBB18_709
.LBB18_250:
	s_mov_b32 s0, -1
                                        ; implicit-def: $vgpr2
                                        ; implicit-def: $vgpr33
.LBB18_251:
	s_and_b32 vcc_lo, exec_lo, s0
	s_cbranch_vccz .LBB18_497
; %bb.252:
	v_mov_b32_e32 v33, 0
	v_mov_b32_e32 v32, 0
	s_waitcnt lgkmcnt(0)
	v_mov_b32_e32 v2, 0
	v_mov_b32_e32 v1, 0
	s_sub_i32 s29, s22, s1
	s_mov_b32 s0, exec_lo
	v_cmpx_gt_u32_e64 s29, v0
	s_cbranch_execz .LBB18_254
; %bb.253:
	v_mad_u64_u32 v[1:2], null, v0, 12, s[18:19]
	s_clause 0x1
	global_load_ubyte v33, v[1:2], off
	global_load_dwordx2 v[1:2], v[1:2], off offset:4
.LBB18_254:
	s_or_b32 exec_lo, exec_lo, s0
	v_or_b32_e32 v3, 0x100, v0
	v_mov_b32_e32 v31, 0
	v_mov_b32_e32 v48, 0
	v_cmp_gt_u32_e64 s17, s29, v3
	s_and_saveexec_b32 s0, s17
	s_cbranch_execz .LBB18_256
; %bb.255:
	v_mad_u64_u32 v[3:4], null, v3, 12, s[18:19]
	s_clause 0x1
	global_load_ubyte v48, v[3:4], off
	global_load_dwordx2 v[31:32], v[3:4], off offset:4
.LBB18_256:
	s_or_b32 exec_lo, exec_lo, s0
	v_or_b32_e32 v3, 0x200, v0
	v_mov_b32_e32 v47, 0
	v_mov_b32_e32 v28, 0
	v_mov_b32_e32 v30, 0
	v_mov_b32_e32 v29, 0
	v_cmp_gt_u32_e64 s16, s29, v3
	s_and_saveexec_b32 s0, s16
	s_cbranch_execz .LBB18_258
; %bb.257:
	v_mad_u64_u32 v[3:4], null, v3, 12, s[18:19]
	s_clause 0x1
	global_load_ubyte v47, v[3:4], off
	global_load_dwordx2 v[29:30], v[3:4], off offset:4
.LBB18_258:
	s_or_b32 exec_lo, exec_lo, s0
	v_or_b32_e32 v3, 0x300, v0
	v_mov_b32_e32 v27, 0
	v_mov_b32_e32 v46, 0
	v_cmp_gt_u32_e64 s15, s29, v3
	s_and_saveexec_b32 s0, s15
	s_cbranch_execz .LBB18_260
; %bb.259:
	v_mad_u64_u32 v[3:4], null, v3, 12, s[18:19]
	s_clause 0x1
	global_load_ubyte v46, v[3:4], off
	global_load_dwordx2 v[27:28], v[3:4], off offset:4
.LBB18_260:
	s_or_b32 exec_lo, exec_lo, s0
	v_or_b32_e32 v3, 0x400, v0
	v_mov_b32_e32 v45, 0
	v_mov_b32_e32 v24, 0
	v_mov_b32_e32 v26, 0
	v_mov_b32_e32 v25, 0
	v_cmp_gt_u32_e64 s14, s29, v3
	s_and_saveexec_b32 s0, s14
	;; [unrolled: 28-line block ×7, first 2 shown]
	s_cbranch_execz .LBB18_282
; %bb.281:
	v_mad_u64_u32 v[3:4], null, v3, 12, s[18:19]
	s_clause 0x1
	global_load_ubyte v35, v[3:4], off
	global_load_dwordx2 v[5:6], v[3:4], off offset:4
.LBB18_282:
	s_or_b32 exec_lo, exec_lo, s30
	v_or_b32_e32 v49, 0xf00, v0
	v_mov_b32_e32 v3, 0
	v_mov_b32_e32 v4, 0
	v_cmp_gt_u32_e32 vcc_lo, s29, v49
	s_and_saveexec_b32 s30, vcc_lo
	s_cbranch_execnz .LBB18_322
; %bb.283:
	s_or_b32 exec_lo, exec_lo, s30
	s_and_saveexec_b32 s19, s17
	s_cbranch_execnz .LBB18_323
.LBB18_284:
	s_or_b32 exec_lo, exec_lo, s19
	s_and_saveexec_b32 s18, s16
	s_cbranch_execnz .LBB18_330
.LBB18_285:
	s_or_b32 exec_lo, exec_lo, s18
	s_and_saveexec_b32 s17, s15
	s_cbranch_execnz .LBB18_337
.LBB18_286:
	s_or_b32 exec_lo, exec_lo, s17
	s_and_saveexec_b32 s16, s14
	s_cbranch_execnz .LBB18_344
.LBB18_287:
	s_or_b32 exec_lo, exec_lo, s16
	s_and_saveexec_b32 s15, s13
	s_cbranch_execnz .LBB18_351
.LBB18_288:
	s_or_b32 exec_lo, exec_lo, s15
	s_and_saveexec_b32 s14, s12
	s_cbranch_execnz .LBB18_358
.LBB18_289:
	s_or_b32 exec_lo, exec_lo, s14
	s_and_saveexec_b32 s13, s11
	s_cbranch_execnz .LBB18_365
.LBB18_290:
	s_or_b32 exec_lo, exec_lo, s13
	s_and_saveexec_b32 s12, s10
	s_cbranch_execnz .LBB18_372
.LBB18_291:
	s_or_b32 exec_lo, exec_lo, s12
	s_and_saveexec_b32 s11, s9
	s_cbranch_execnz .LBB18_379
.LBB18_292:
	s_or_b32 exec_lo, exec_lo, s11
	s_and_saveexec_b32 s10, s8
	s_cbranch_execnz .LBB18_386
.LBB18_293:
	s_or_b32 exec_lo, exec_lo, s10
	s_and_saveexec_b32 s9, s3
	s_cbranch_execnz .LBB18_393
.LBB18_294:
	s_or_b32 exec_lo, exec_lo, s9
	s_and_saveexec_b32 s8, s2
	s_cbranch_execnz .LBB18_400
.LBB18_295:
	s_or_b32 exec_lo, exec_lo, s8
	s_and_saveexec_b32 s3, s1
	s_cbranch_execnz .LBB18_407
.LBB18_296:
	s_or_b32 exec_lo, exec_lo, s3
	s_and_saveexec_b32 s2, s0
	s_cbranch_execnz .LBB18_414
.LBB18_297:
	s_or_b32 exec_lo, exec_lo, s2
	s_and_saveexec_b32 s1, vcc_lo
	s_cbranch_execnz .LBB18_421
	s_branch .LBB18_428
.LBB18_298:
	s_mov_b32 s0, -1
                                        ; implicit-def: $vgpr2
                                        ; implicit-def: $vgpr17
.LBB18_299:
	s_and_b32 vcc_lo, exec_lo, s0
	s_cbranch_vccz .LBB18_626
; %bb.300:
	v_mov_b32_e32 v17, 0
	v_mov_b32_e32 v16, 0
	s_waitcnt lgkmcnt(0)
	v_mov_b32_e32 v2, 0
	v_mov_b32_e32 v1, 0
	s_sub_i32 s13, s22, s1
	s_mov_b32 s0, exec_lo
	v_cmpx_gt_u32_e64 s13, v0
	s_cbranch_execz .LBB18_302
; %bb.301:
	v_mad_u64_u32 v[1:2], null, v0, 12, s[10:11]
	s_clause 0x1
	global_load_ubyte v17, v[1:2], off
	global_load_dwordx2 v[1:2], v[1:2], off offset:4
.LBB18_302:
	s_or_b32 exec_lo, exec_lo, s0
	v_or_b32_e32 v3, 0x100, v0
	v_mov_b32_e32 v15, 0
	v_mov_b32_e32 v24, 0
	v_cmp_gt_u32_e64 s9, s13, v3
	s_and_saveexec_b32 s0, s9
	s_cbranch_execz .LBB18_304
; %bb.303:
	v_mad_u64_u32 v[3:4], null, v3, 12, s[10:11]
	s_clause 0x1
	global_load_ubyte v24, v[3:4], off
	global_load_dwordx2 v[15:16], v[3:4], off offset:4
.LBB18_304:
	s_or_b32 exec_lo, exec_lo, s0
	v_or_b32_e32 v3, 0x200, v0
	v_mov_b32_e32 v23, 0
	v_mov_b32_e32 v12, 0
	v_mov_b32_e32 v14, 0
	v_mov_b32_e32 v13, 0
	v_cmp_gt_u32_e64 s8, s13, v3
	s_and_saveexec_b32 s0, s8
	s_cbranch_execz .LBB18_306
; %bb.305:
	v_mad_u64_u32 v[3:4], null, v3, 12, s[10:11]
	s_clause 0x1
	global_load_ubyte v23, v[3:4], off
	global_load_dwordx2 v[13:14], v[3:4], off offset:4
.LBB18_306:
	s_or_b32 exec_lo, exec_lo, s0
	v_or_b32_e32 v3, 0x300, v0
	v_mov_b32_e32 v11, 0
	v_mov_b32_e32 v22, 0
	v_cmp_gt_u32_e64 s3, s13, v3
	s_and_saveexec_b32 s0, s3
	s_cbranch_execz .LBB18_308
; %bb.307:
	v_mad_u64_u32 v[3:4], null, v3, 12, s[10:11]
	s_clause 0x1
	global_load_ubyte v22, v[3:4], off
	global_load_dwordx2 v[11:12], v[3:4], off offset:4
.LBB18_308:
	s_or_b32 exec_lo, exec_lo, s0
	v_or_b32_e32 v3, 0x400, v0
	v_mov_b32_e32 v21, 0
	v_mov_b32_e32 v8, 0
	v_mov_b32_e32 v10, 0
	v_mov_b32_e32 v9, 0
	v_cmp_gt_u32_e64 s2, s13, v3
	s_and_saveexec_b32 s0, s2
	;; [unrolled: 28-line block ×3, first 2 shown]
	s_cbranch_execz .LBB18_314
; %bb.313:
	v_mad_u64_u32 v[3:4], null, v3, 12, s[10:11]
	s_clause 0x1
	global_load_ubyte v19, v[3:4], off
	global_load_dwordx2 v[5:6], v[3:4], off offset:4
.LBB18_314:
	s_or_b32 exec_lo, exec_lo, s14
	v_or_b32_e32 v25, 0x700, v0
	v_mov_b32_e32 v3, 0
	v_mov_b32_e32 v4, 0
	v_cmp_gt_u32_e32 vcc_lo, s13, v25
	s_and_saveexec_b32 s14, vcc_lo
	s_cbranch_execnz .LBB18_507
; %bb.315:
	s_or_b32 exec_lo, exec_lo, s14
	s_and_saveexec_b32 s11, s9
	s_cbranch_execnz .LBB18_508
.LBB18_316:
	s_or_b32 exec_lo, exec_lo, s11
	s_and_saveexec_b32 s10, s8
	s_cbranch_execnz .LBB18_515
.LBB18_317:
	s_or_b32 exec_lo, exec_lo, s10
	s_and_saveexec_b32 s9, s3
	s_cbranch_execnz .LBB18_522
.LBB18_318:
	s_or_b32 exec_lo, exec_lo, s9
	s_and_saveexec_b32 s8, s2
	s_cbranch_execnz .LBB18_529
.LBB18_319:
	s_or_b32 exec_lo, exec_lo, s8
	s_and_saveexec_b32 s3, s1
	s_cbranch_execnz .LBB18_536
.LBB18_320:
	s_or_b32 exec_lo, exec_lo, s3
	s_and_saveexec_b32 s2, s0
	s_cbranch_execnz .LBB18_543
.LBB18_321:
	s_or_b32 exec_lo, exec_lo, s2
	s_and_saveexec_b32 s1, vcc_lo
	s_cbranch_execnz .LBB18_550
	s_branch .LBB18_557
.LBB18_322:
	v_mad_u64_u32 v[3:4], null, v49, 12, s[18:19]
	s_clause 0x1
	global_load_ubyte v34, v[3:4], off
	global_load_dwordx2 v[3:4], v[3:4], off offset:4
	s_or_b32 exec_lo, exec_lo, s30
	s_and_saveexec_b32 s19, s17
	s_cbranch_execz .LBB18_284
.LBB18_323:
	s_waitcnt vmcnt(1)
	v_and_b32_e32 v33, 1, v33
	v_and_b32_e32 v49, 1, v48
	v_cmp_eq_u32_e64 s17, 1, v33
	v_cmp_eq_u32_e64 s18, 1, v49
                                        ; implicit-def: $vgpr33
	s_and_b32 s18, s17, s18
	s_xor_b32 s18, s18, -1
	s_and_saveexec_b32 s30, s18
	s_xor_b32 s18, exec_lo, s30
	s_cbranch_execz .LBB18_327
; %bb.324:
	v_mov_b32_e32 v33, 1
	s_xor_b32 s30, s17, -1
	s_and_saveexec_b32 s17, s30
	s_cbranch_execz .LBB18_326
; %bb.325:
	v_and_b32_e32 v33, 0xff, v48
	s_waitcnt vmcnt(0)
	v_mov_b32_e32 v2, v32
	v_mov_b32_e32 v1, v31
.LBB18_326:
	s_or_b32 exec_lo, exec_lo, s17
                                        ; implicit-def: $vgpr31
.LBB18_327:
	s_andn2_saveexec_b32 s18, s18
	s_cbranch_execz .LBB18_329
; %bb.328:
	s_waitcnt vmcnt(0)
	v_cmp_lt_f32_e64 s17, v31, v1
	v_mov_b32_e32 v33, 1
	v_cndmask_b32_e64 v1, v1, v31, s17
	v_cmp_lt_f32_e64 s17, v2, v32
	v_cndmask_b32_e64 v2, v2, v32, s17
.LBB18_329:
	s_or_b32 exec_lo, exec_lo, s18
	s_or_b32 exec_lo, exec_lo, s19
	s_and_saveexec_b32 s18, s16
	s_cbranch_execz .LBB18_285
.LBB18_330:
	s_waitcnt vmcnt(0)
	v_and_b32_e32 v31, 1, v33
	v_and_b32_e32 v32, 1, v47
                                        ; implicit-def: $vgpr33
	v_cmp_eq_u32_e64 s16, 1, v31
	v_cmp_eq_u32_e64 s17, 1, v32
	s_and_b32 s17, s16, s17
	s_xor_b32 s17, s17, -1
	s_and_saveexec_b32 s19, s17
	s_xor_b32 s17, exec_lo, s19
	s_cbranch_execz .LBB18_334
; %bb.331:
	v_mov_b32_e32 v33, 1
	s_xor_b32 s19, s16, -1
	s_and_saveexec_b32 s16, s19
; %bb.332:
	v_and_b32_e32 v33, 0xff, v47
	v_mov_b32_e32 v2, v30
	v_mov_b32_e32 v1, v29
; %bb.333:
	s_or_b32 exec_lo, exec_lo, s16
                                        ; implicit-def: $vgpr29
.LBB18_334:
	s_andn2_saveexec_b32 s17, s17
; %bb.335:
	v_cmp_lt_f32_e64 s16, v29, v1
	v_mov_b32_e32 v33, 1
	v_cndmask_b32_e64 v1, v1, v29, s16
	v_cmp_lt_f32_e64 s16, v2, v30
	v_cndmask_b32_e64 v2, v2, v30, s16
; %bb.336:
	s_or_b32 exec_lo, exec_lo, s17
	s_or_b32 exec_lo, exec_lo, s18
	s_and_saveexec_b32 s17, s15
	s_cbranch_execz .LBB18_286
.LBB18_337:
	s_waitcnt vmcnt(0)
	v_and_b32_e32 v29, 1, v33
	v_and_b32_e32 v30, 1, v46
                                        ; implicit-def: $vgpr33
	v_cmp_eq_u32_e64 s15, 1, v29
	v_cmp_eq_u32_e64 s16, 1, v30
	s_and_b32 s16, s15, s16
	s_xor_b32 s16, s16, -1
	s_and_saveexec_b32 s18, s16
	s_xor_b32 s16, exec_lo, s18
	s_cbranch_execz .LBB18_341
; %bb.338:
	v_mov_b32_e32 v33, 1
	s_xor_b32 s18, s15, -1
	s_and_saveexec_b32 s15, s18
; %bb.339:
	v_and_b32_e32 v33, 0xff, v46
	v_mov_b32_e32 v2, v28
	v_mov_b32_e32 v1, v27
; %bb.340:
	s_or_b32 exec_lo, exec_lo, s15
                                        ; implicit-def: $vgpr27
.LBB18_341:
	s_andn2_saveexec_b32 s16, s16
; %bb.342:
	v_cmp_lt_f32_e64 s15, v27, v1
	v_mov_b32_e32 v33, 1
	v_cndmask_b32_e64 v1, v1, v27, s15
	v_cmp_lt_f32_e64 s15, v2, v28
	v_cndmask_b32_e64 v2, v2, v28, s15
; %bb.343:
	s_or_b32 exec_lo, exec_lo, s16
	s_or_b32 exec_lo, exec_lo, s17
	s_and_saveexec_b32 s16, s14
	s_cbranch_execz .LBB18_287
.LBB18_344:
	s_waitcnt vmcnt(0)
	v_and_b32_e32 v27, 1, v33
	v_and_b32_e32 v28, 1, v45
                                        ; implicit-def: $vgpr33
	v_cmp_eq_u32_e64 s14, 1, v27
	v_cmp_eq_u32_e64 s15, 1, v28
	s_and_b32 s15, s14, s15
	s_xor_b32 s15, s15, -1
	s_and_saveexec_b32 s17, s15
	s_xor_b32 s15, exec_lo, s17
	s_cbranch_execz .LBB18_348
; %bb.345:
	v_mov_b32_e32 v33, 1
	s_xor_b32 s17, s14, -1
	s_and_saveexec_b32 s14, s17
; %bb.346:
	v_and_b32_e32 v33, 0xff, v45
	v_mov_b32_e32 v2, v26
	v_mov_b32_e32 v1, v25
; %bb.347:
	s_or_b32 exec_lo, exec_lo, s14
                                        ; implicit-def: $vgpr25
.LBB18_348:
	s_andn2_saveexec_b32 s15, s15
; %bb.349:
	v_cmp_lt_f32_e64 s14, v25, v1
	v_mov_b32_e32 v33, 1
	v_cndmask_b32_e64 v1, v1, v25, s14
	v_cmp_lt_f32_e64 s14, v2, v26
	v_cndmask_b32_e64 v2, v2, v26, s14
; %bb.350:
	s_or_b32 exec_lo, exec_lo, s15
	s_or_b32 exec_lo, exec_lo, s16
	s_and_saveexec_b32 s15, s13
	s_cbranch_execz .LBB18_288
.LBB18_351:
	s_waitcnt vmcnt(0)
	v_and_b32_e32 v25, 1, v33
	v_and_b32_e32 v26, 1, v44
                                        ; implicit-def: $vgpr33
	v_cmp_eq_u32_e64 s13, 1, v25
	v_cmp_eq_u32_e64 s14, 1, v26
	s_and_b32 s14, s13, s14
	s_xor_b32 s14, s14, -1
	s_and_saveexec_b32 s16, s14
	s_xor_b32 s14, exec_lo, s16
	s_cbranch_execz .LBB18_355
; %bb.352:
	v_mov_b32_e32 v33, 1
	s_xor_b32 s16, s13, -1
	s_and_saveexec_b32 s13, s16
; %bb.353:
	v_and_b32_e32 v33, 0xff, v44
	v_mov_b32_e32 v2, v24
	v_mov_b32_e32 v1, v23
; %bb.354:
	s_or_b32 exec_lo, exec_lo, s13
                                        ; implicit-def: $vgpr23
.LBB18_355:
	s_andn2_saveexec_b32 s14, s14
; %bb.356:
	v_cmp_lt_f32_e64 s13, v23, v1
	v_mov_b32_e32 v33, 1
	v_cndmask_b32_e64 v1, v1, v23, s13
	v_cmp_lt_f32_e64 s13, v2, v24
	v_cndmask_b32_e64 v2, v2, v24, s13
; %bb.357:
	s_or_b32 exec_lo, exec_lo, s14
	s_or_b32 exec_lo, exec_lo, s15
	s_and_saveexec_b32 s14, s12
	s_cbranch_execz .LBB18_289
.LBB18_358:
	s_waitcnt vmcnt(0)
	v_and_b32_e32 v23, 1, v33
	v_and_b32_e32 v24, 1, v43
                                        ; implicit-def: $vgpr33
	v_cmp_eq_u32_e64 s12, 1, v23
	v_cmp_eq_u32_e64 s13, 1, v24
	s_and_b32 s13, s12, s13
	s_xor_b32 s13, s13, -1
	s_and_saveexec_b32 s15, s13
	s_xor_b32 s13, exec_lo, s15
	s_cbranch_execz .LBB18_362
; %bb.359:
	v_mov_b32_e32 v33, 1
	s_xor_b32 s15, s12, -1
	s_and_saveexec_b32 s12, s15
; %bb.360:
	v_and_b32_e32 v33, 0xff, v43
	v_mov_b32_e32 v2, v22
	v_mov_b32_e32 v1, v21
; %bb.361:
	s_or_b32 exec_lo, exec_lo, s12
                                        ; implicit-def: $vgpr21
.LBB18_362:
	s_andn2_saveexec_b32 s13, s13
; %bb.363:
	v_cmp_lt_f32_e64 s12, v21, v1
	v_mov_b32_e32 v33, 1
	v_cndmask_b32_e64 v1, v1, v21, s12
	v_cmp_lt_f32_e64 s12, v2, v22
	v_cndmask_b32_e64 v2, v2, v22, s12
; %bb.364:
	s_or_b32 exec_lo, exec_lo, s13
	s_or_b32 exec_lo, exec_lo, s14
	s_and_saveexec_b32 s13, s11
	s_cbranch_execz .LBB18_290
.LBB18_365:
	s_waitcnt vmcnt(0)
	v_and_b32_e32 v21, 1, v33
	v_and_b32_e32 v22, 1, v42
                                        ; implicit-def: $vgpr33
	v_cmp_eq_u32_e64 s11, 1, v21
	v_cmp_eq_u32_e64 s12, 1, v22
	s_and_b32 s12, s11, s12
	s_xor_b32 s12, s12, -1
	s_and_saveexec_b32 s14, s12
	s_xor_b32 s12, exec_lo, s14
	s_cbranch_execz .LBB18_369
; %bb.366:
	v_mov_b32_e32 v33, 1
	s_xor_b32 s14, s11, -1
	s_and_saveexec_b32 s11, s14
; %bb.367:
	v_and_b32_e32 v33, 0xff, v42
	v_mov_b32_e32 v2, v20
	v_mov_b32_e32 v1, v19
; %bb.368:
	s_or_b32 exec_lo, exec_lo, s11
                                        ; implicit-def: $vgpr19
.LBB18_369:
	s_andn2_saveexec_b32 s12, s12
; %bb.370:
	v_cmp_lt_f32_e64 s11, v19, v1
	v_mov_b32_e32 v33, 1
	v_cndmask_b32_e64 v1, v1, v19, s11
	v_cmp_lt_f32_e64 s11, v2, v20
	v_cndmask_b32_e64 v2, v2, v20, s11
; %bb.371:
	s_or_b32 exec_lo, exec_lo, s12
	s_or_b32 exec_lo, exec_lo, s13
	s_and_saveexec_b32 s12, s10
	s_cbranch_execz .LBB18_291
.LBB18_372:
	s_waitcnt vmcnt(0)
	v_and_b32_e32 v19, 1, v33
	v_and_b32_e32 v20, 1, v41
                                        ; implicit-def: $vgpr33
	v_cmp_eq_u32_e64 s10, 1, v19
	v_cmp_eq_u32_e64 s11, 1, v20
	s_and_b32 s11, s10, s11
	s_xor_b32 s11, s11, -1
	s_and_saveexec_b32 s13, s11
	s_xor_b32 s11, exec_lo, s13
	s_cbranch_execz .LBB18_376
; %bb.373:
	v_mov_b32_e32 v33, 1
	s_xor_b32 s13, s10, -1
	s_and_saveexec_b32 s10, s13
; %bb.374:
	v_and_b32_e32 v33, 0xff, v41
	v_mov_b32_e32 v2, v18
	v_mov_b32_e32 v1, v17
; %bb.375:
	s_or_b32 exec_lo, exec_lo, s10
                                        ; implicit-def: $vgpr17
.LBB18_376:
	s_andn2_saveexec_b32 s11, s11
; %bb.377:
	v_cmp_lt_f32_e64 s10, v17, v1
	v_mov_b32_e32 v33, 1
	v_cndmask_b32_e64 v1, v1, v17, s10
	v_cmp_lt_f32_e64 s10, v2, v18
	v_cndmask_b32_e64 v2, v2, v18, s10
; %bb.378:
	s_or_b32 exec_lo, exec_lo, s11
	s_or_b32 exec_lo, exec_lo, s12
	s_and_saveexec_b32 s11, s9
	s_cbranch_execz .LBB18_292
.LBB18_379:
	s_waitcnt vmcnt(0)
	v_and_b32_e32 v17, 1, v33
	v_and_b32_e32 v18, 1, v40
                                        ; implicit-def: $vgpr33
	v_cmp_eq_u32_e64 s9, 1, v17
	v_cmp_eq_u32_e64 s10, 1, v18
	s_and_b32 s10, s9, s10
	s_xor_b32 s10, s10, -1
	s_and_saveexec_b32 s12, s10
	s_xor_b32 s10, exec_lo, s12
	s_cbranch_execz .LBB18_383
; %bb.380:
	v_mov_b32_e32 v33, 1
	s_xor_b32 s12, s9, -1
	s_and_saveexec_b32 s9, s12
; %bb.381:
	v_and_b32_e32 v33, 0xff, v40
	v_mov_b32_e32 v2, v16
	v_mov_b32_e32 v1, v15
; %bb.382:
	s_or_b32 exec_lo, exec_lo, s9
                                        ; implicit-def: $vgpr15
.LBB18_383:
	s_andn2_saveexec_b32 s10, s10
; %bb.384:
	v_cmp_lt_f32_e64 s9, v15, v1
	v_mov_b32_e32 v33, 1
	v_cndmask_b32_e64 v1, v1, v15, s9
	v_cmp_lt_f32_e64 s9, v2, v16
	v_cndmask_b32_e64 v2, v2, v16, s9
; %bb.385:
	s_or_b32 exec_lo, exec_lo, s10
	s_or_b32 exec_lo, exec_lo, s11
	s_and_saveexec_b32 s10, s8
	s_cbranch_execz .LBB18_293
.LBB18_386:
	s_waitcnt vmcnt(0)
	v_and_b32_e32 v15, 1, v33
	v_and_b32_e32 v16, 1, v39
                                        ; implicit-def: $vgpr33
	v_cmp_eq_u32_e64 s8, 1, v15
	v_cmp_eq_u32_e64 s9, 1, v16
	s_and_b32 s9, s8, s9
	s_xor_b32 s9, s9, -1
	s_and_saveexec_b32 s11, s9
	s_xor_b32 s9, exec_lo, s11
	s_cbranch_execz .LBB18_390
; %bb.387:
	v_mov_b32_e32 v33, 1
	s_xor_b32 s11, s8, -1
	s_and_saveexec_b32 s8, s11
; %bb.388:
	v_and_b32_e32 v33, 0xff, v39
	v_mov_b32_e32 v2, v14
	v_mov_b32_e32 v1, v13
; %bb.389:
	s_or_b32 exec_lo, exec_lo, s8
                                        ; implicit-def: $vgpr13
.LBB18_390:
	s_andn2_saveexec_b32 s9, s9
; %bb.391:
	v_cmp_lt_f32_e64 s8, v13, v1
	v_mov_b32_e32 v33, 1
	v_cndmask_b32_e64 v1, v1, v13, s8
	v_cmp_lt_f32_e64 s8, v2, v14
	v_cndmask_b32_e64 v2, v2, v14, s8
; %bb.392:
	s_or_b32 exec_lo, exec_lo, s9
	s_or_b32 exec_lo, exec_lo, s10
	s_and_saveexec_b32 s9, s3
	s_cbranch_execz .LBB18_294
.LBB18_393:
	s_waitcnt vmcnt(0)
	v_and_b32_e32 v13, 1, v33
	v_and_b32_e32 v14, 1, v38
                                        ; implicit-def: $vgpr33
	v_cmp_eq_u32_e64 s3, 1, v13
	v_cmp_eq_u32_e64 s8, 1, v14
	s_and_b32 s8, s3, s8
	s_xor_b32 s8, s8, -1
	s_and_saveexec_b32 s10, s8
	s_xor_b32 s8, exec_lo, s10
	s_cbranch_execz .LBB18_397
; %bb.394:
	v_mov_b32_e32 v33, 1
	s_xor_b32 s10, s3, -1
	s_and_saveexec_b32 s3, s10
; %bb.395:
	v_and_b32_e32 v33, 0xff, v38
	v_mov_b32_e32 v2, v12
	v_mov_b32_e32 v1, v11
; %bb.396:
	s_or_b32 exec_lo, exec_lo, s3
                                        ; implicit-def: $vgpr11
.LBB18_397:
	s_andn2_saveexec_b32 s8, s8
; %bb.398:
	v_cmp_lt_f32_e64 s3, v11, v1
	v_mov_b32_e32 v33, 1
	v_cndmask_b32_e64 v1, v1, v11, s3
	v_cmp_lt_f32_e64 s3, v2, v12
	v_cndmask_b32_e64 v2, v2, v12, s3
; %bb.399:
	s_or_b32 exec_lo, exec_lo, s8
	s_or_b32 exec_lo, exec_lo, s9
	s_and_saveexec_b32 s8, s2
	s_cbranch_execz .LBB18_295
.LBB18_400:
	s_waitcnt vmcnt(0)
	v_and_b32_e32 v11, 1, v33
	v_and_b32_e32 v12, 1, v37
                                        ; implicit-def: $vgpr33
	v_cmp_eq_u32_e64 s2, 1, v11
	v_cmp_eq_u32_e64 s3, 1, v12
	s_and_b32 s3, s2, s3
	s_xor_b32 s3, s3, -1
	s_and_saveexec_b32 s9, s3
	s_xor_b32 s3, exec_lo, s9
	s_cbranch_execz .LBB18_404
; %bb.401:
	v_mov_b32_e32 v33, 1
	s_xor_b32 s9, s2, -1
	s_and_saveexec_b32 s2, s9
; %bb.402:
	v_and_b32_e32 v33, 0xff, v37
	v_mov_b32_e32 v2, v10
	v_mov_b32_e32 v1, v9
; %bb.403:
	s_or_b32 exec_lo, exec_lo, s2
                                        ; implicit-def: $vgpr9
.LBB18_404:
	s_andn2_saveexec_b32 s3, s3
; %bb.405:
	v_cmp_lt_f32_e64 s2, v9, v1
	v_mov_b32_e32 v33, 1
	v_cndmask_b32_e64 v1, v1, v9, s2
	v_cmp_lt_f32_e64 s2, v2, v10
	v_cndmask_b32_e64 v2, v2, v10, s2
; %bb.406:
	s_or_b32 exec_lo, exec_lo, s3
	s_or_b32 exec_lo, exec_lo, s8
	s_and_saveexec_b32 s3, s1
	s_cbranch_execz .LBB18_296
.LBB18_407:
	s_waitcnt vmcnt(0)
	v_and_b32_e32 v9, 1, v33
	v_and_b32_e32 v10, 1, v36
                                        ; implicit-def: $vgpr33
	v_cmp_eq_u32_e64 s1, 1, v9
	v_cmp_eq_u32_e64 s2, 1, v10
	s_and_b32 s2, s1, s2
	s_xor_b32 s2, s2, -1
	s_and_saveexec_b32 s8, s2
	s_xor_b32 s2, exec_lo, s8
	s_cbranch_execz .LBB18_411
; %bb.408:
	v_mov_b32_e32 v33, 1
	s_xor_b32 s8, s1, -1
	s_and_saveexec_b32 s1, s8
; %bb.409:
	v_and_b32_e32 v33, 0xff, v36
	v_mov_b32_e32 v2, v8
	v_mov_b32_e32 v1, v7
; %bb.410:
	s_or_b32 exec_lo, exec_lo, s1
                                        ; implicit-def: $vgpr7
.LBB18_411:
	s_andn2_saveexec_b32 s2, s2
; %bb.412:
	v_cmp_lt_f32_e64 s1, v7, v1
	v_mov_b32_e32 v33, 1
	v_cndmask_b32_e64 v1, v1, v7, s1
	v_cmp_lt_f32_e64 s1, v2, v8
	v_cndmask_b32_e64 v2, v2, v8, s1
; %bb.413:
	s_or_b32 exec_lo, exec_lo, s2
	s_or_b32 exec_lo, exec_lo, s3
	s_and_saveexec_b32 s2, s0
	s_cbranch_execz .LBB18_297
.LBB18_414:
	s_waitcnt vmcnt(0)
	v_and_b32_e32 v7, 1, v33
	v_and_b32_e32 v8, 1, v35
                                        ; implicit-def: $vgpr33
	v_cmp_eq_u32_e64 s0, 1, v7
	v_cmp_eq_u32_e64 s1, 1, v8
	s_and_b32 s1, s0, s1
	s_xor_b32 s1, s1, -1
	s_and_saveexec_b32 s3, s1
	s_xor_b32 s1, exec_lo, s3
	s_cbranch_execz .LBB18_418
; %bb.415:
	v_mov_b32_e32 v33, 1
	s_xor_b32 s3, s0, -1
	s_and_saveexec_b32 s0, s3
; %bb.416:
	v_and_b32_e32 v33, 0xff, v35
	v_mov_b32_e32 v2, v6
	v_mov_b32_e32 v1, v5
; %bb.417:
	s_or_b32 exec_lo, exec_lo, s0
                                        ; implicit-def: $vgpr5
.LBB18_418:
	s_andn2_saveexec_b32 s1, s1
; %bb.419:
	v_cmp_lt_f32_e64 s0, v5, v1
	v_mov_b32_e32 v33, 1
	v_cndmask_b32_e64 v1, v1, v5, s0
	v_cmp_lt_f32_e64 s0, v2, v6
	v_cndmask_b32_e64 v2, v2, v6, s0
; %bb.420:
	s_or_b32 exec_lo, exec_lo, s1
	s_or_b32 exec_lo, exec_lo, s2
	s_and_saveexec_b32 s1, vcc_lo
	s_cbranch_execz .LBB18_428
.LBB18_421:
	s_waitcnt vmcnt(0)
	v_and_b32_e32 v5, 1, v33
	v_and_b32_e32 v6, 1, v34
                                        ; implicit-def: $vgpr33
	v_cmp_eq_u32_e32 vcc_lo, 1, v5
	v_cmp_eq_u32_e64 s0, 1, v6
	s_and_b32 s0, vcc_lo, s0
	s_xor_b32 s0, s0, -1
	s_and_saveexec_b32 s2, s0
	s_xor_b32 s0, exec_lo, s2
	s_cbranch_execz .LBB18_425
; %bb.422:
	v_mov_b32_e32 v33, 1
	s_xor_b32 s3, vcc_lo, -1
	s_and_saveexec_b32 s2, s3
; %bb.423:
	v_and_b32_e32 v33, 0xff, v34
	v_mov_b32_e32 v2, v4
	v_mov_b32_e32 v1, v3
; %bb.424:
	s_or_b32 exec_lo, exec_lo, s2
                                        ; implicit-def: $vgpr3
.LBB18_425:
	s_andn2_saveexec_b32 s0, s0
; %bb.426:
	v_cmp_lt_f32_e32 vcc_lo, v3, v1
	v_mov_b32_e32 v33, 1
	v_cndmask_b32_e32 v1, v1, v3, vcc_lo
	v_cmp_lt_f32_e32 vcc_lo, v2, v4
	v_cndmask_b32_e32 v2, v2, v4, vcc_lo
; %bb.427:
	s_or_b32 exec_lo, exec_lo, s0
.LBB18_428:
	s_or_b32 exec_lo, exec_lo, s1
	s_waitcnt vmcnt(0)
	v_mbcnt_lo_u32_b32 v3, -1, 0
	s_min_u32 s0, s29, 0x100
	s_mov_b32 s1, exec_lo
	v_cmp_ne_u32_e32 vcc_lo, 31, v3
	v_add_nc_u32_e32 v8, 1, v3
	v_add_co_ci_u32_e64 v4, null, 0, v3, vcc_lo
	v_lshlrev_b32_e32 v4, 2, v4
	ds_bpermute_b32 v7, v4, v33
	ds_bpermute_b32 v5, v4, v1
	;; [unrolled: 1-line block ×3, first 2 shown]
	v_and_b32_e32 v4, 0xe0, v0
	v_sub_nc_u32_e64 v4, s0, v4 clamp
	v_cmpx_lt_u32_e64 v8, v4
	s_xor_b32 s1, exec_lo, s1
	s_cbranch_execz .LBB18_436
; %bb.429:
	s_waitcnt lgkmcnt(2)
	v_and_b32_e32 v8, v7, v33
	s_mov_b32 s2, exec_lo
	v_cmpx_ne_u32_e32 0, v8
	s_xor_b32 s2, exec_lo, s2
	s_cbranch_execz .LBB18_431
; %bb.430:
	s_waitcnt lgkmcnt(1)
	v_cmp_gt_f32_e32 vcc_lo, v1, v5
                                        ; implicit-def: $vgpr7
                                        ; implicit-def: $vgpr33
	v_cndmask_b32_e32 v5, v1, v5, vcc_lo
	s_waitcnt lgkmcnt(0)
	v_cmp_lt_f32_e32 vcc_lo, v2, v6
	v_cndmask_b32_e32 v6, v2, v6, vcc_lo
                                        ; implicit-def: $vgpr2
.LBB18_431:
	s_or_saveexec_b32 s2, s2
	v_mov_b32_e32 v8, 1
	s_xor_b32 exec_lo, exec_lo, s2
	s_cbranch_execz .LBB18_435
; %bb.432:
	v_and_b32_e32 v8, 1, v33
	s_mov_b32 s3, exec_lo
	v_cmpx_eq_u32_e32 1, v8
	s_cbranch_execz .LBB18_434
; %bb.433:
	v_mov_b32_e32 v7, 1
	s_waitcnt lgkmcnt(0)
	v_mov_b32_e32 v6, v2
	v_mov_b32_e32 v5, v1
.LBB18_434:
	s_or_b32 exec_lo, exec_lo, s3
	v_mov_b32_e32 v8, v7
.LBB18_435:
	s_or_b32 exec_lo, exec_lo, s2
	v_and_b32_e32 v33, 0xff, v8
	s_waitcnt lgkmcnt(1)
	v_mov_b32_e32 v1, v5
	s_waitcnt lgkmcnt(0)
	v_mov_b32_e32 v2, v6
.LBB18_436:
	s_or_b32 exec_lo, exec_lo, s1
	v_cmp_gt_u32_e32 vcc_lo, 30, v3
	v_add_nc_u32_e32 v8, 2, v3
	s_mov_b32 s1, exec_lo
	s_waitcnt lgkmcnt(1)
	v_cndmask_b32_e64 v5, 0, 2, vcc_lo
	v_add_lshl_u32 v5, v5, v3, 2
	ds_bpermute_b32 v7, v5, v33
	s_waitcnt lgkmcnt(1)
	ds_bpermute_b32 v6, v5, v1
	ds_bpermute_b32 v5, v5, v2
	v_cmpx_lt_u32_e64 v8, v4
	s_cbranch_execz .LBB18_444
; %bb.437:
	s_waitcnt lgkmcnt(2)
	v_and_b32_e32 v8, v33, v7
	s_mov_b32 s2, exec_lo
	v_and_b32_e32 v8, 1, v8
	v_cmpx_eq_u32_e32 1, v8
	s_xor_b32 s2, exec_lo, s2
	s_cbranch_execz .LBB18_439
; %bb.438:
	s_waitcnt lgkmcnt(1)
	v_cmp_gt_f32_e32 vcc_lo, v1, v6
                                        ; implicit-def: $vgpr7
                                        ; implicit-def: $vgpr33
	v_cndmask_b32_e32 v6, v1, v6, vcc_lo
	s_waitcnt lgkmcnt(0)
	v_cmp_lt_f32_e32 vcc_lo, v2, v5
	v_cndmask_b32_e32 v5, v2, v5, vcc_lo
                                        ; implicit-def: $vgpr2
.LBB18_439:
	s_or_saveexec_b32 s2, s2
	v_mov_b32_e32 v8, 1
	s_xor_b32 exec_lo, exec_lo, s2
	s_cbranch_execz .LBB18_443
; %bb.440:
	v_and_b32_e32 v8, 1, v33
	s_mov_b32 s3, exec_lo
	v_cmpx_eq_u32_e32 1, v8
	s_cbranch_execz .LBB18_442
; %bb.441:
	v_mov_b32_e32 v7, 1
	s_waitcnt lgkmcnt(0)
	v_mov_b32_e32 v5, v2
	v_mov_b32_e32 v6, v1
.LBB18_442:
	s_or_b32 exec_lo, exec_lo, s3
	v_mov_b32_e32 v8, v7
.LBB18_443:
	s_or_b32 exec_lo, exec_lo, s2
	v_and_b32_e32 v33, 0xff, v8
	s_waitcnt lgkmcnt(1)
	v_mov_b32_e32 v1, v6
	s_waitcnt lgkmcnt(0)
	v_mov_b32_e32 v2, v5
.LBB18_444:
	s_or_b32 exec_lo, exec_lo, s1
	v_cmp_gt_u32_e32 vcc_lo, 28, v3
	v_add_nc_u32_e32 v8, 4, v3
	s_mov_b32 s1, exec_lo
	s_waitcnt lgkmcnt(0)
	v_cndmask_b32_e64 v5, 0, 4, vcc_lo
	v_add_lshl_u32 v5, v5, v3, 2
	ds_bpermute_b32 v7, v5, v33
	ds_bpermute_b32 v6, v5, v1
	;; [unrolled: 1-line block ×3, first 2 shown]
	v_cmpx_lt_u32_e64 v8, v4
	s_cbranch_execz .LBB18_452
; %bb.445:
	s_waitcnt lgkmcnt(2)
	v_and_b32_e32 v8, v33, v7
	s_mov_b32 s2, exec_lo
	v_and_b32_e32 v8, 1, v8
	v_cmpx_eq_u32_e32 1, v8
	s_xor_b32 s2, exec_lo, s2
	s_cbranch_execz .LBB18_447
; %bb.446:
	s_waitcnt lgkmcnt(1)
	v_cmp_gt_f32_e32 vcc_lo, v1, v6
                                        ; implicit-def: $vgpr7
                                        ; implicit-def: $vgpr33
	v_cndmask_b32_e32 v6, v1, v6, vcc_lo
	s_waitcnt lgkmcnt(0)
	v_cmp_lt_f32_e32 vcc_lo, v2, v5
	v_cndmask_b32_e32 v5, v2, v5, vcc_lo
                                        ; implicit-def: $vgpr2
.LBB18_447:
	s_or_saveexec_b32 s2, s2
	v_mov_b32_e32 v8, 1
	s_xor_b32 exec_lo, exec_lo, s2
	s_cbranch_execz .LBB18_451
; %bb.448:
	v_and_b32_e32 v8, 1, v33
	s_mov_b32 s3, exec_lo
	v_cmpx_eq_u32_e32 1, v8
	s_cbranch_execz .LBB18_450
; %bb.449:
	v_mov_b32_e32 v7, 1
	s_waitcnt lgkmcnt(0)
	v_mov_b32_e32 v5, v2
	v_mov_b32_e32 v6, v1
.LBB18_450:
	s_or_b32 exec_lo, exec_lo, s3
	v_mov_b32_e32 v8, v7
.LBB18_451:
	s_or_b32 exec_lo, exec_lo, s2
	v_and_b32_e32 v33, 0xff, v8
	s_waitcnt lgkmcnt(1)
	v_mov_b32_e32 v1, v6
	s_waitcnt lgkmcnt(0)
	v_mov_b32_e32 v2, v5
.LBB18_452:
	s_or_b32 exec_lo, exec_lo, s1
	v_cmp_gt_u32_e32 vcc_lo, 24, v3
	v_add_nc_u32_e32 v8, 8, v3
	s_mov_b32 s1, exec_lo
	s_waitcnt lgkmcnt(0)
	v_cndmask_b32_e64 v5, 0, 8, vcc_lo
	v_add_lshl_u32 v5, v5, v3, 2
	ds_bpermute_b32 v7, v5, v33
	ds_bpermute_b32 v6, v5, v1
	;; [unrolled: 1-line block ×3, first 2 shown]
	v_cmpx_lt_u32_e64 v8, v4
	s_cbranch_execz .LBB18_460
; %bb.453:
	s_waitcnt lgkmcnt(2)
	v_and_b32_e32 v8, v33, v7
	s_mov_b32 s2, exec_lo
	v_and_b32_e32 v8, 1, v8
	v_cmpx_eq_u32_e32 1, v8
	s_xor_b32 s2, exec_lo, s2
	s_cbranch_execz .LBB18_455
; %bb.454:
	s_waitcnt lgkmcnt(1)
	v_cmp_gt_f32_e32 vcc_lo, v1, v6
                                        ; implicit-def: $vgpr7
                                        ; implicit-def: $vgpr33
	v_cndmask_b32_e32 v6, v1, v6, vcc_lo
	s_waitcnt lgkmcnt(0)
	v_cmp_lt_f32_e32 vcc_lo, v2, v5
	v_cndmask_b32_e32 v5, v2, v5, vcc_lo
                                        ; implicit-def: $vgpr2
.LBB18_455:
	s_or_saveexec_b32 s2, s2
	v_mov_b32_e32 v8, 1
	s_xor_b32 exec_lo, exec_lo, s2
	s_cbranch_execz .LBB18_459
; %bb.456:
	v_and_b32_e32 v8, 1, v33
	s_mov_b32 s3, exec_lo
	v_cmpx_eq_u32_e32 1, v8
	s_cbranch_execz .LBB18_458
; %bb.457:
	v_mov_b32_e32 v7, 1
	s_waitcnt lgkmcnt(0)
	v_mov_b32_e32 v5, v2
	v_mov_b32_e32 v6, v1
.LBB18_458:
	s_or_b32 exec_lo, exec_lo, s3
	v_mov_b32_e32 v8, v7
.LBB18_459:
	s_or_b32 exec_lo, exec_lo, s2
	v_and_b32_e32 v33, 0xff, v8
	s_waitcnt lgkmcnt(1)
	v_mov_b32_e32 v1, v6
	s_waitcnt lgkmcnt(0)
	v_mov_b32_e32 v2, v5
.LBB18_460:
	s_or_b32 exec_lo, exec_lo, s1
	s_waitcnt lgkmcnt(0)
	v_lshlrev_b32_e32 v5, 2, v3
	v_add_nc_u32_e32 v9, 16, v3
	v_or_b32_e32 v7, 64, v5
	v_cmp_lt_u32_e32 vcc_lo, v9, v4
	v_mov_b32_e32 v4, v33
	ds_bpermute_b32 v8, v7, v33
	ds_bpermute_b32 v6, v7, v1
	;; [unrolled: 1-line block ×3, first 2 shown]
	s_and_saveexec_b32 s1, vcc_lo
	s_cbranch_execz .LBB18_468
; %bb.461:
	s_waitcnt lgkmcnt(2)
	v_and_b32_e32 v4, v33, v8
	s_mov_b32 s2, exec_lo
	v_and_b32_e32 v4, 1, v4
	v_cmpx_eq_u32_e32 1, v4
	s_xor_b32 s2, exec_lo, s2
	s_cbranch_execz .LBB18_463
; %bb.462:
	s_waitcnt lgkmcnt(1)
	v_cmp_gt_f32_e32 vcc_lo, v1, v6
                                        ; implicit-def: $vgpr8
                                        ; implicit-def: $vgpr33
	v_cndmask_b32_e32 v6, v1, v6, vcc_lo
	s_waitcnt lgkmcnt(0)
	v_cmp_lt_f32_e32 vcc_lo, v2, v7
	v_cndmask_b32_e32 v7, v2, v7, vcc_lo
                                        ; implicit-def: $vgpr2
.LBB18_463:
	s_or_saveexec_b32 s2, s2
	v_mov_b32_e32 v4, 1
	s_xor_b32 exec_lo, exec_lo, s2
	s_cbranch_execz .LBB18_467
; %bb.464:
	v_and_b32_e32 v4, 1, v33
	s_mov_b32 s3, exec_lo
	v_cmpx_eq_u32_e32 1, v4
	s_cbranch_execz .LBB18_466
; %bb.465:
	v_mov_b32_e32 v8, 1
	s_waitcnt lgkmcnt(0)
	v_mov_b32_e32 v7, v2
	v_mov_b32_e32 v6, v1
.LBB18_466:
	s_or_b32 exec_lo, exec_lo, s3
	v_mov_b32_e32 v4, v8
.LBB18_467:
	s_or_b32 exec_lo, exec_lo, s2
	v_and_b32_e32 v33, 0xff, v4
	s_waitcnt lgkmcnt(0)
	v_mov_b32_e32 v2, v7
	v_mov_b32_e32 v1, v6
.LBB18_468:
	s_or_b32 exec_lo, exec_lo, s1
	s_mov_b32 s1, exec_lo
	v_cmpx_eq_u32_e32 0, v3
	s_cbranch_execz .LBB18_470
; %bb.469:
	s_waitcnt lgkmcnt(1)
	v_lshrrev_b32_e32 v6, 5, v0
	v_mul_u32_u24_e32 v6, 12, v6
	ds_write_b8 v6, v4
	ds_write2_b32 v6, v1, v2 offset0:1 offset1:2
.LBB18_470:
	s_or_b32 exec_lo, exec_lo, s1
	s_mov_b32 s1, exec_lo
	s_waitcnt lgkmcnt(0)
	s_barrier
	buffer_gl0_inv
	v_cmpx_gt_u32_e32 8, v0
	s_cbranch_execz .LBB18_496
; %bb.471:
	v_mul_u32_u24_e32 v1, 12, v3
	v_and_b32_e32 v4, 7, v3
	s_add_i32 s0, s0, 31
	ds_read_u8 v9, v1
	ds_read2_b32 v[1:2], v1 offset0:1 offset1:2
	v_cmp_ne_u32_e32 vcc_lo, 7, v4
	v_add_nc_u32_e32 v10, 1, v4
	s_lshr_b32 s0, s0, 5
	v_add_co_ci_u32_e64 v6, null, 0, v3, vcc_lo
	v_cmp_gt_u32_e32 vcc_lo, s0, v10
	v_lshlrev_b32_e32 v7, 2, v6
	s_waitcnt lgkmcnt(1)
	v_and_b32_e32 v33, 0xff, v9
	s_waitcnt lgkmcnt(0)
	ds_bpermute_b32 v6, v7, v1
	v_mov_b32_e32 v10, v1
	v_mov_b32_e32 v11, v2
	ds_bpermute_b32 v8, v7, v33
	ds_bpermute_b32 v7, v7, v2
	s_and_saveexec_b32 s2, vcc_lo
	s_cbranch_execz .LBB18_479
; %bb.472:
	s_waitcnt lgkmcnt(1)
	v_and_b32_e32 v10, v33, v8
	s_mov_b32 s3, exec_lo
	v_and_b32_e32 v10, 1, v10
	v_cmpx_eq_u32_e32 1, v10
	s_xor_b32 s3, exec_lo, s3
	s_cbranch_execz .LBB18_474
; %bb.473:
	v_cmp_gt_f32_e32 vcc_lo, v1, v6
                                        ; implicit-def: $vgpr8
                                        ; implicit-def: $vgpr9
	v_cndmask_b32_e32 v6, v1, v6, vcc_lo
	s_waitcnt lgkmcnt(0)
	v_cmp_lt_f32_e32 vcc_lo, v2, v7
	v_cndmask_b32_e32 v7, v2, v7, vcc_lo
                                        ; implicit-def: $vgpr2
.LBB18_474:
	s_or_saveexec_b32 s3, s3
	v_mov_b32_e32 v10, 1
	s_xor_b32 exec_lo, exec_lo, s3
	s_cbranch_execz .LBB18_478
; %bb.475:
	v_and_b32_e32 v9, 1, v9
	s_mov_b32 s8, exec_lo
	v_cmpx_eq_u32_e32 1, v9
	s_cbranch_execz .LBB18_477
; %bb.476:
	v_mov_b32_e32 v8, 1
	s_waitcnt lgkmcnt(0)
	v_mov_b32_e32 v7, v2
	v_mov_b32_e32 v6, v1
.LBB18_477:
	s_or_b32 exec_lo, exec_lo, s8
	v_mov_b32_e32 v10, v8
.LBB18_478:
	s_or_b32 exec_lo, exec_lo, s3
	v_and_b32_e32 v33, 0xff, v10
	v_mov_b32_e32 v10, v6
	s_waitcnt lgkmcnt(0)
	v_mov_b32_e32 v11, v7
	v_mov_b32_e32 v2, v7
	;; [unrolled: 1-line block ×3, first 2 shown]
.LBB18_479:
	s_or_b32 exec_lo, exec_lo, s2
	v_cmp_gt_u32_e32 vcc_lo, 6, v4
	s_waitcnt lgkmcnt(1)
	v_add_nc_u32_e32 v8, 2, v4
	s_mov_b32 s2, exec_lo
	v_cndmask_b32_e64 v6, 0, 2, vcc_lo
	v_add_lshl_u32 v6, v6, v3, 2
	s_waitcnt lgkmcnt(0)
	ds_bpermute_b32 v7, v6, v33
	ds_bpermute_b32 v3, v6, v10
	;; [unrolled: 1-line block ×3, first 2 shown]
	v_cmpx_gt_u32_e64 s0, v8
	s_cbranch_execz .LBB18_487
; %bb.480:
	s_waitcnt lgkmcnt(2)
	v_and_b32_e32 v8, v33, v7
	s_mov_b32 s3, exec_lo
	v_and_b32_e32 v8, 1, v8
	v_cmpx_eq_u32_e32 1, v8
	s_xor_b32 s3, exec_lo, s3
	s_cbranch_execz .LBB18_482
; %bb.481:
	s_waitcnt lgkmcnt(1)
	v_cmp_gt_f32_e32 vcc_lo, v1, v3
                                        ; implicit-def: $vgpr7
                                        ; implicit-def: $vgpr33
	v_cndmask_b32_e32 v3, v1, v3, vcc_lo
	s_waitcnt lgkmcnt(0)
	v_cmp_lt_f32_e32 vcc_lo, v2, v6
	v_cndmask_b32_e32 v6, v2, v6, vcc_lo
                                        ; implicit-def: $vgpr2
.LBB18_482:
	s_or_saveexec_b32 s3, s3
	v_mov_b32_e32 v8, 1
	s_xor_b32 exec_lo, exec_lo, s3
	s_cbranch_execz .LBB18_486
; %bb.483:
	v_and_b32_e32 v8, 1, v33
	s_mov_b32 s8, exec_lo
	v_cmpx_eq_u32_e32 1, v8
	s_cbranch_execz .LBB18_485
; %bb.484:
	v_mov_b32_e32 v7, 1
	s_waitcnt lgkmcnt(0)
	v_mov_b32_e32 v6, v2
	v_mov_b32_e32 v3, v1
.LBB18_485:
	s_or_b32 exec_lo, exec_lo, s8
	v_mov_b32_e32 v8, v7
.LBB18_486:
	s_or_b32 exec_lo, exec_lo, s3
	v_and_b32_e32 v33, 0xff, v8
	s_waitcnt lgkmcnt(1)
	v_mov_b32_e32 v10, v3
	s_waitcnt lgkmcnt(0)
	v_mov_b32_e32 v11, v6
	v_mov_b32_e32 v2, v6
	;; [unrolled: 1-line block ×3, first 2 shown]
.LBB18_487:
	s_or_b32 exec_lo, exec_lo, s2
	v_or_b32_e32 v5, 16, v5
	v_add_nc_u32_e32 v4, 4, v4
	s_waitcnt lgkmcnt(0)
	ds_bpermute_b32 v6, v5, v33
	ds_bpermute_b32 v3, v5, v10
	;; [unrolled: 1-line block ×3, first 2 shown]
	v_cmp_gt_u32_e32 vcc_lo, s0, v4
	s_and_saveexec_b32 s0, vcc_lo
	s_cbranch_execz .LBB18_495
; %bb.488:
	s_waitcnt lgkmcnt(2)
	v_and_b32_e32 v4, v33, v6
	s_mov_b32 s2, exec_lo
	v_and_b32_e32 v4, 1, v4
	v_cmpx_eq_u32_e32 1, v4
	s_xor_b32 s2, exec_lo, s2
	s_cbranch_execz .LBB18_490
; %bb.489:
	s_waitcnt lgkmcnt(1)
	v_cmp_gt_f32_e32 vcc_lo, v1, v3
                                        ; implicit-def: $vgpr6
                                        ; implicit-def: $vgpr33
	v_cndmask_b32_e32 v3, v1, v3, vcc_lo
	s_waitcnt lgkmcnt(0)
	v_cmp_lt_f32_e32 vcc_lo, v2, v5
	v_cndmask_b32_e32 v5, v2, v5, vcc_lo
                                        ; implicit-def: $vgpr2
.LBB18_490:
	s_or_saveexec_b32 s2, s2
	v_mov_b32_e32 v4, 1
	s_xor_b32 exec_lo, exec_lo, s2
	s_cbranch_execz .LBB18_494
; %bb.491:
	v_and_b32_e32 v4, 1, v33
	s_mov_b32 s3, exec_lo
	v_cmpx_eq_u32_e32 1, v4
	s_cbranch_execz .LBB18_493
; %bb.492:
	v_mov_b32_e32 v6, 1
	s_waitcnt lgkmcnt(0)
	v_mov_b32_e32 v5, v2
	v_mov_b32_e32 v3, v1
.LBB18_493:
	s_or_b32 exec_lo, exec_lo, s3
	v_mov_b32_e32 v4, v6
.LBB18_494:
	s_or_b32 exec_lo, exec_lo, s2
	s_waitcnt lgkmcnt(0)
	v_mov_b32_e32 v2, v5
	v_mov_b32_e32 v1, v3
	;; [unrolled: 1-line block ×3, first 2 shown]
.LBB18_495:
	s_or_b32 exec_lo, exec_lo, s0
.LBB18_496:
	s_or_b32 exec_lo, exec_lo, s1
.LBB18_497:
	s_mov_b32 s12, 0
	s_mov_b32 s0, exec_lo
                                        ; implicit-def: $vgpr4
                                        ; implicit-def: $vgpr6
	v_cmpx_eq_u32_e32 0, v0
	s_xor_b32 s0, exec_lo, s0
	s_cbranch_execz .LBB18_505
; %bb.498:
	v_mov_b32_e32 v4, s25
	s_waitcnt lgkmcnt(1)
	v_mov_b32_e32 v3, s24
	v_mov_b32_e32 v6, s26
	s_cmp_eq_u64 s[22:23], 0
	s_cbranch_scc1 .LBB18_504
; %bb.499:
	v_and_b32_e32 v3, 1, v33
	s_bitcmp1_b32 s26, 0
                                        ; implicit-def: $vgpr6
	s_cselect_b32 s1, -1, 0
	v_cmp_eq_u32_e32 vcc_lo, 1, v3
                                        ; implicit-def: $vgpr4
	s_and_b32 s2, s1, vcc_lo
	s_xor_b32 s2, s2, -1
	s_and_saveexec_b32 s3, s2
	s_xor_b32 s2, exec_lo, s3
	s_cbranch_execz .LBB18_501
; %bb.500:
	v_cndmask_b32_e64 v6, v33, 1, s1
	v_cndmask_b32_e64 v3, v1, s24, s1
	s_waitcnt lgkmcnt(0)
	v_cndmask_b32_e64 v4, v2, s25, s1
                                        ; implicit-def: $vgpr1
.LBB18_501:
	s_andn2_saveexec_b32 s1, s2
	s_cbranch_execz .LBB18_503
; %bb.502:
	v_cmp_gt_f32_e32 vcc_lo, s24, v1
	v_mov_b32_e32 v6, 1
	v_cndmask_b32_e32 v3, s24, v1, vcc_lo
	s_waitcnt lgkmcnt(0)
	v_cmp_lt_f32_e32 vcc_lo, s25, v2
	v_cndmask_b32_e32 v4, s25, v2, vcc_lo
.LBB18_503:
	s_or_b32 exec_lo, exec_lo, s1
.LBB18_504:
	s_mov_b32 s12, exec_lo
.LBB18_505:
	s_or_b32 exec_lo, exec_lo, s0
	s_and_b32 vcc_lo, exec_lo, s28
	s_cbranch_vccnz .LBB18_152
.LBB18_506:
	s_branch .LBB18_709
.LBB18_507:
	v_mad_u64_u32 v[3:4], null, v25, 12, s[10:11]
	s_clause 0x1
	global_load_ubyte v18, v[3:4], off
	global_load_dwordx2 v[3:4], v[3:4], off offset:4
	s_or_b32 exec_lo, exec_lo, s14
	s_and_saveexec_b32 s11, s9
	s_cbranch_execz .LBB18_316
.LBB18_508:
	s_waitcnt vmcnt(1)
	v_and_b32_e32 v17, 1, v17
	v_and_b32_e32 v25, 1, v24
	v_cmp_eq_u32_e64 s9, 1, v17
	v_cmp_eq_u32_e64 s10, 1, v25
                                        ; implicit-def: $vgpr17
	s_and_b32 s10, s9, s10
	s_xor_b32 s10, s10, -1
	s_and_saveexec_b32 s14, s10
	s_xor_b32 s10, exec_lo, s14
	s_cbranch_execz .LBB18_512
; %bb.509:
	v_mov_b32_e32 v17, 1
	s_xor_b32 s14, s9, -1
	s_and_saveexec_b32 s9, s14
	s_cbranch_execz .LBB18_511
; %bb.510:
	v_and_b32_e32 v17, 0xff, v24
	s_waitcnt vmcnt(0)
	v_mov_b32_e32 v2, v16
	v_mov_b32_e32 v1, v15
.LBB18_511:
	s_or_b32 exec_lo, exec_lo, s9
                                        ; implicit-def: $vgpr15
.LBB18_512:
	s_andn2_saveexec_b32 s10, s10
	s_cbranch_execz .LBB18_514
; %bb.513:
	s_waitcnt vmcnt(0)
	v_cmp_lt_f32_e64 s9, v15, v1
	v_mov_b32_e32 v17, 1
	v_cndmask_b32_e64 v1, v1, v15, s9
	v_cmp_lt_f32_e64 s9, v2, v16
	v_cndmask_b32_e64 v2, v2, v16, s9
.LBB18_514:
	s_or_b32 exec_lo, exec_lo, s10
	s_or_b32 exec_lo, exec_lo, s11
	s_and_saveexec_b32 s10, s8
	s_cbranch_execz .LBB18_317
.LBB18_515:
	s_waitcnt vmcnt(0)
	v_and_b32_e32 v15, 1, v17
	v_and_b32_e32 v16, 1, v23
                                        ; implicit-def: $vgpr17
	v_cmp_eq_u32_e64 s8, 1, v15
	v_cmp_eq_u32_e64 s9, 1, v16
	s_and_b32 s9, s8, s9
	s_xor_b32 s9, s9, -1
	s_and_saveexec_b32 s11, s9
	s_xor_b32 s9, exec_lo, s11
	s_cbranch_execz .LBB18_519
; %bb.516:
	v_mov_b32_e32 v17, 1
	s_xor_b32 s11, s8, -1
	s_and_saveexec_b32 s8, s11
; %bb.517:
	v_and_b32_e32 v17, 0xff, v23
	v_mov_b32_e32 v2, v14
	v_mov_b32_e32 v1, v13
; %bb.518:
	s_or_b32 exec_lo, exec_lo, s8
                                        ; implicit-def: $vgpr13
.LBB18_519:
	s_andn2_saveexec_b32 s9, s9
; %bb.520:
	v_cmp_lt_f32_e64 s8, v13, v1
	v_mov_b32_e32 v17, 1
	v_cndmask_b32_e64 v1, v1, v13, s8
	v_cmp_lt_f32_e64 s8, v2, v14
	v_cndmask_b32_e64 v2, v2, v14, s8
; %bb.521:
	s_or_b32 exec_lo, exec_lo, s9
	s_or_b32 exec_lo, exec_lo, s10
	s_and_saveexec_b32 s9, s3
	s_cbranch_execz .LBB18_318
.LBB18_522:
	s_waitcnt vmcnt(0)
	v_and_b32_e32 v13, 1, v17
	v_and_b32_e32 v14, 1, v22
                                        ; implicit-def: $vgpr17
	v_cmp_eq_u32_e64 s3, 1, v13
	v_cmp_eq_u32_e64 s8, 1, v14
	s_and_b32 s8, s3, s8
	s_xor_b32 s8, s8, -1
	s_and_saveexec_b32 s10, s8
	s_xor_b32 s8, exec_lo, s10
	s_cbranch_execz .LBB18_526
; %bb.523:
	v_mov_b32_e32 v17, 1
	s_xor_b32 s10, s3, -1
	s_and_saveexec_b32 s3, s10
; %bb.524:
	v_and_b32_e32 v17, 0xff, v22
	v_mov_b32_e32 v2, v12
	v_mov_b32_e32 v1, v11
; %bb.525:
	s_or_b32 exec_lo, exec_lo, s3
                                        ; implicit-def: $vgpr11
.LBB18_526:
	s_andn2_saveexec_b32 s8, s8
; %bb.527:
	v_cmp_lt_f32_e64 s3, v11, v1
	v_mov_b32_e32 v17, 1
	v_cndmask_b32_e64 v1, v1, v11, s3
	v_cmp_lt_f32_e64 s3, v2, v12
	v_cndmask_b32_e64 v2, v2, v12, s3
; %bb.528:
	s_or_b32 exec_lo, exec_lo, s8
	s_or_b32 exec_lo, exec_lo, s9
	s_and_saveexec_b32 s8, s2
	s_cbranch_execz .LBB18_319
.LBB18_529:
	s_waitcnt vmcnt(0)
	v_and_b32_e32 v11, 1, v17
	v_and_b32_e32 v12, 1, v21
                                        ; implicit-def: $vgpr17
	v_cmp_eq_u32_e64 s2, 1, v11
	v_cmp_eq_u32_e64 s3, 1, v12
	s_and_b32 s3, s2, s3
	s_xor_b32 s3, s3, -1
	s_and_saveexec_b32 s9, s3
	s_xor_b32 s3, exec_lo, s9
	s_cbranch_execz .LBB18_533
; %bb.530:
	v_mov_b32_e32 v17, 1
	s_xor_b32 s9, s2, -1
	s_and_saveexec_b32 s2, s9
; %bb.531:
	v_and_b32_e32 v17, 0xff, v21
	v_mov_b32_e32 v2, v10
	v_mov_b32_e32 v1, v9
; %bb.532:
	s_or_b32 exec_lo, exec_lo, s2
                                        ; implicit-def: $vgpr9
.LBB18_533:
	s_andn2_saveexec_b32 s3, s3
; %bb.534:
	v_cmp_lt_f32_e64 s2, v9, v1
	v_mov_b32_e32 v17, 1
	v_cndmask_b32_e64 v1, v1, v9, s2
	v_cmp_lt_f32_e64 s2, v2, v10
	v_cndmask_b32_e64 v2, v2, v10, s2
; %bb.535:
	s_or_b32 exec_lo, exec_lo, s3
	s_or_b32 exec_lo, exec_lo, s8
	s_and_saveexec_b32 s3, s1
	s_cbranch_execz .LBB18_320
.LBB18_536:
	s_waitcnt vmcnt(0)
	v_and_b32_e32 v9, 1, v17
	v_and_b32_e32 v10, 1, v20
                                        ; implicit-def: $vgpr17
	v_cmp_eq_u32_e64 s1, 1, v9
	v_cmp_eq_u32_e64 s2, 1, v10
	s_and_b32 s2, s1, s2
	s_xor_b32 s2, s2, -1
	s_and_saveexec_b32 s8, s2
	s_xor_b32 s2, exec_lo, s8
	s_cbranch_execz .LBB18_540
; %bb.537:
	v_mov_b32_e32 v17, 1
	s_xor_b32 s8, s1, -1
	s_and_saveexec_b32 s1, s8
; %bb.538:
	v_and_b32_e32 v17, 0xff, v20
	v_mov_b32_e32 v2, v8
	v_mov_b32_e32 v1, v7
; %bb.539:
	s_or_b32 exec_lo, exec_lo, s1
                                        ; implicit-def: $vgpr7
.LBB18_540:
	s_andn2_saveexec_b32 s2, s2
; %bb.541:
	v_cmp_lt_f32_e64 s1, v7, v1
	v_mov_b32_e32 v17, 1
	v_cndmask_b32_e64 v1, v1, v7, s1
	v_cmp_lt_f32_e64 s1, v2, v8
	v_cndmask_b32_e64 v2, v2, v8, s1
; %bb.542:
	s_or_b32 exec_lo, exec_lo, s2
	s_or_b32 exec_lo, exec_lo, s3
	s_and_saveexec_b32 s2, s0
	s_cbranch_execz .LBB18_321
.LBB18_543:
	s_waitcnt vmcnt(0)
	v_and_b32_e32 v7, 1, v17
	v_and_b32_e32 v8, 1, v19
                                        ; implicit-def: $vgpr17
	v_cmp_eq_u32_e64 s0, 1, v7
	v_cmp_eq_u32_e64 s1, 1, v8
	s_and_b32 s1, s0, s1
	s_xor_b32 s1, s1, -1
	s_and_saveexec_b32 s3, s1
	s_xor_b32 s1, exec_lo, s3
	s_cbranch_execz .LBB18_547
; %bb.544:
	v_mov_b32_e32 v17, 1
	s_xor_b32 s3, s0, -1
	s_and_saveexec_b32 s0, s3
; %bb.545:
	v_and_b32_e32 v17, 0xff, v19
	v_mov_b32_e32 v2, v6
	v_mov_b32_e32 v1, v5
; %bb.546:
	s_or_b32 exec_lo, exec_lo, s0
                                        ; implicit-def: $vgpr5
.LBB18_547:
	s_andn2_saveexec_b32 s1, s1
; %bb.548:
	v_cmp_lt_f32_e64 s0, v5, v1
	v_mov_b32_e32 v17, 1
	v_cndmask_b32_e64 v1, v1, v5, s0
	v_cmp_lt_f32_e64 s0, v2, v6
	v_cndmask_b32_e64 v2, v2, v6, s0
; %bb.549:
	s_or_b32 exec_lo, exec_lo, s1
	s_or_b32 exec_lo, exec_lo, s2
	s_and_saveexec_b32 s1, vcc_lo
	s_cbranch_execz .LBB18_557
.LBB18_550:
	s_waitcnt vmcnt(0)
	v_and_b32_e32 v5, 1, v17
	v_and_b32_e32 v6, 1, v18
                                        ; implicit-def: $vgpr17
	v_cmp_eq_u32_e32 vcc_lo, 1, v5
	v_cmp_eq_u32_e64 s0, 1, v6
	s_and_b32 s0, vcc_lo, s0
	s_xor_b32 s0, s0, -1
	s_and_saveexec_b32 s2, s0
	s_xor_b32 s0, exec_lo, s2
	s_cbranch_execz .LBB18_554
; %bb.551:
	v_mov_b32_e32 v17, 1
	s_xor_b32 s3, vcc_lo, -1
	s_and_saveexec_b32 s2, s3
; %bb.552:
	v_and_b32_e32 v17, 0xff, v18
	v_mov_b32_e32 v2, v4
	v_mov_b32_e32 v1, v3
; %bb.553:
	s_or_b32 exec_lo, exec_lo, s2
                                        ; implicit-def: $vgpr3
.LBB18_554:
	s_andn2_saveexec_b32 s0, s0
; %bb.555:
	v_cmp_lt_f32_e32 vcc_lo, v3, v1
	v_mov_b32_e32 v17, 1
	v_cndmask_b32_e32 v1, v1, v3, vcc_lo
	v_cmp_lt_f32_e32 vcc_lo, v2, v4
	v_cndmask_b32_e32 v2, v2, v4, vcc_lo
; %bb.556:
	s_or_b32 exec_lo, exec_lo, s0
.LBB18_557:
	s_or_b32 exec_lo, exec_lo, s1
	s_waitcnt vmcnt(0)
	v_mbcnt_lo_u32_b32 v3, -1, 0
	s_min_u32 s0, s13, 0x100
	s_mov_b32 s1, exec_lo
	v_cmp_ne_u32_e32 vcc_lo, 31, v3
	v_add_nc_u32_e32 v8, 1, v3
	v_add_co_ci_u32_e64 v4, null, 0, v3, vcc_lo
	v_lshlrev_b32_e32 v4, 2, v4
	ds_bpermute_b32 v7, v4, v17
	ds_bpermute_b32 v5, v4, v1
	;; [unrolled: 1-line block ×3, first 2 shown]
	v_and_b32_e32 v4, 0xe0, v0
	v_sub_nc_u32_e64 v4, s0, v4 clamp
	v_cmpx_lt_u32_e64 v8, v4
	s_xor_b32 s1, exec_lo, s1
	s_cbranch_execz .LBB18_565
; %bb.558:
	s_waitcnt lgkmcnt(2)
	v_and_b32_e32 v8, v7, v17
	s_mov_b32 s2, exec_lo
	v_cmpx_ne_u32_e32 0, v8
	s_xor_b32 s2, exec_lo, s2
	s_cbranch_execz .LBB18_560
; %bb.559:
	s_waitcnt lgkmcnt(1)
	v_cmp_gt_f32_e32 vcc_lo, v1, v5
                                        ; implicit-def: $vgpr7
                                        ; implicit-def: $vgpr17
	v_cndmask_b32_e32 v5, v1, v5, vcc_lo
	s_waitcnt lgkmcnt(0)
	v_cmp_lt_f32_e32 vcc_lo, v2, v6
	v_cndmask_b32_e32 v6, v2, v6, vcc_lo
                                        ; implicit-def: $vgpr2
.LBB18_560:
	s_or_saveexec_b32 s2, s2
	v_mov_b32_e32 v8, 1
	s_xor_b32 exec_lo, exec_lo, s2
	s_cbranch_execz .LBB18_564
; %bb.561:
	v_and_b32_e32 v8, 1, v17
	s_mov_b32 s3, exec_lo
	v_cmpx_eq_u32_e32 1, v8
	s_cbranch_execz .LBB18_563
; %bb.562:
	v_mov_b32_e32 v7, 1
	s_waitcnt lgkmcnt(0)
	v_mov_b32_e32 v6, v2
	v_mov_b32_e32 v5, v1
.LBB18_563:
	s_or_b32 exec_lo, exec_lo, s3
	v_mov_b32_e32 v8, v7
.LBB18_564:
	s_or_b32 exec_lo, exec_lo, s2
	v_and_b32_e32 v17, 0xff, v8
	s_waitcnt lgkmcnt(1)
	v_mov_b32_e32 v1, v5
	s_waitcnt lgkmcnt(0)
	v_mov_b32_e32 v2, v6
.LBB18_565:
	s_or_b32 exec_lo, exec_lo, s1
	v_cmp_gt_u32_e32 vcc_lo, 30, v3
	v_add_nc_u32_e32 v8, 2, v3
	s_mov_b32 s1, exec_lo
	s_waitcnt lgkmcnt(1)
	v_cndmask_b32_e64 v5, 0, 2, vcc_lo
	v_add_lshl_u32 v5, v5, v3, 2
	ds_bpermute_b32 v7, v5, v17
	s_waitcnt lgkmcnt(1)
	ds_bpermute_b32 v6, v5, v1
	ds_bpermute_b32 v5, v5, v2
	v_cmpx_lt_u32_e64 v8, v4
	s_cbranch_execz .LBB18_573
; %bb.566:
	s_waitcnt lgkmcnt(2)
	v_and_b32_e32 v8, v17, v7
	s_mov_b32 s2, exec_lo
	v_and_b32_e32 v8, 1, v8
	v_cmpx_eq_u32_e32 1, v8
	s_xor_b32 s2, exec_lo, s2
	s_cbranch_execz .LBB18_568
; %bb.567:
	s_waitcnt lgkmcnt(1)
	v_cmp_gt_f32_e32 vcc_lo, v1, v6
                                        ; implicit-def: $vgpr7
                                        ; implicit-def: $vgpr17
	v_cndmask_b32_e32 v6, v1, v6, vcc_lo
	s_waitcnt lgkmcnt(0)
	v_cmp_lt_f32_e32 vcc_lo, v2, v5
	v_cndmask_b32_e32 v5, v2, v5, vcc_lo
                                        ; implicit-def: $vgpr2
.LBB18_568:
	s_or_saveexec_b32 s2, s2
	v_mov_b32_e32 v8, 1
	s_xor_b32 exec_lo, exec_lo, s2
	s_cbranch_execz .LBB18_572
; %bb.569:
	v_and_b32_e32 v8, 1, v17
	s_mov_b32 s3, exec_lo
	v_cmpx_eq_u32_e32 1, v8
	s_cbranch_execz .LBB18_571
; %bb.570:
	v_mov_b32_e32 v7, 1
	s_waitcnt lgkmcnt(0)
	v_mov_b32_e32 v5, v2
	v_mov_b32_e32 v6, v1
.LBB18_571:
	s_or_b32 exec_lo, exec_lo, s3
	v_mov_b32_e32 v8, v7
.LBB18_572:
	s_or_b32 exec_lo, exec_lo, s2
	v_and_b32_e32 v17, 0xff, v8
	s_waitcnt lgkmcnt(1)
	v_mov_b32_e32 v1, v6
	s_waitcnt lgkmcnt(0)
	v_mov_b32_e32 v2, v5
.LBB18_573:
	s_or_b32 exec_lo, exec_lo, s1
	v_cmp_gt_u32_e32 vcc_lo, 28, v3
	v_add_nc_u32_e32 v8, 4, v3
	s_mov_b32 s1, exec_lo
	s_waitcnt lgkmcnt(0)
	v_cndmask_b32_e64 v5, 0, 4, vcc_lo
	v_add_lshl_u32 v5, v5, v3, 2
	ds_bpermute_b32 v7, v5, v17
	ds_bpermute_b32 v6, v5, v1
	;; [unrolled: 1-line block ×3, first 2 shown]
	v_cmpx_lt_u32_e64 v8, v4
	s_cbranch_execz .LBB18_581
; %bb.574:
	s_waitcnt lgkmcnt(2)
	v_and_b32_e32 v8, v17, v7
	s_mov_b32 s2, exec_lo
	v_and_b32_e32 v8, 1, v8
	v_cmpx_eq_u32_e32 1, v8
	s_xor_b32 s2, exec_lo, s2
	s_cbranch_execz .LBB18_576
; %bb.575:
	s_waitcnt lgkmcnt(1)
	v_cmp_gt_f32_e32 vcc_lo, v1, v6
                                        ; implicit-def: $vgpr7
                                        ; implicit-def: $vgpr17
	v_cndmask_b32_e32 v6, v1, v6, vcc_lo
	s_waitcnt lgkmcnt(0)
	v_cmp_lt_f32_e32 vcc_lo, v2, v5
	v_cndmask_b32_e32 v5, v2, v5, vcc_lo
                                        ; implicit-def: $vgpr2
.LBB18_576:
	s_or_saveexec_b32 s2, s2
	v_mov_b32_e32 v8, 1
	s_xor_b32 exec_lo, exec_lo, s2
	s_cbranch_execz .LBB18_580
; %bb.577:
	v_and_b32_e32 v8, 1, v17
	s_mov_b32 s3, exec_lo
	v_cmpx_eq_u32_e32 1, v8
	s_cbranch_execz .LBB18_579
; %bb.578:
	v_mov_b32_e32 v7, 1
	s_waitcnt lgkmcnt(0)
	v_mov_b32_e32 v5, v2
	v_mov_b32_e32 v6, v1
.LBB18_579:
	s_or_b32 exec_lo, exec_lo, s3
	v_mov_b32_e32 v8, v7
.LBB18_580:
	s_or_b32 exec_lo, exec_lo, s2
	v_and_b32_e32 v17, 0xff, v8
	s_waitcnt lgkmcnt(1)
	v_mov_b32_e32 v1, v6
	s_waitcnt lgkmcnt(0)
	v_mov_b32_e32 v2, v5
.LBB18_581:
	s_or_b32 exec_lo, exec_lo, s1
	v_cmp_gt_u32_e32 vcc_lo, 24, v3
	v_add_nc_u32_e32 v8, 8, v3
	s_mov_b32 s1, exec_lo
	s_waitcnt lgkmcnt(0)
	v_cndmask_b32_e64 v5, 0, 8, vcc_lo
	v_add_lshl_u32 v5, v5, v3, 2
	ds_bpermute_b32 v7, v5, v17
	ds_bpermute_b32 v6, v5, v1
	;; [unrolled: 1-line block ×3, first 2 shown]
	v_cmpx_lt_u32_e64 v8, v4
	s_cbranch_execz .LBB18_589
; %bb.582:
	s_waitcnt lgkmcnt(2)
	v_and_b32_e32 v8, v17, v7
	s_mov_b32 s2, exec_lo
	v_and_b32_e32 v8, 1, v8
	v_cmpx_eq_u32_e32 1, v8
	s_xor_b32 s2, exec_lo, s2
	s_cbranch_execz .LBB18_584
; %bb.583:
	s_waitcnt lgkmcnt(1)
	v_cmp_gt_f32_e32 vcc_lo, v1, v6
                                        ; implicit-def: $vgpr7
                                        ; implicit-def: $vgpr17
	v_cndmask_b32_e32 v6, v1, v6, vcc_lo
	s_waitcnt lgkmcnt(0)
	v_cmp_lt_f32_e32 vcc_lo, v2, v5
	v_cndmask_b32_e32 v5, v2, v5, vcc_lo
                                        ; implicit-def: $vgpr2
.LBB18_584:
	s_or_saveexec_b32 s2, s2
	v_mov_b32_e32 v8, 1
	s_xor_b32 exec_lo, exec_lo, s2
	s_cbranch_execz .LBB18_588
; %bb.585:
	v_and_b32_e32 v8, 1, v17
	s_mov_b32 s3, exec_lo
	v_cmpx_eq_u32_e32 1, v8
	s_cbranch_execz .LBB18_587
; %bb.586:
	v_mov_b32_e32 v7, 1
	s_waitcnt lgkmcnt(0)
	v_mov_b32_e32 v5, v2
	v_mov_b32_e32 v6, v1
.LBB18_587:
	s_or_b32 exec_lo, exec_lo, s3
	v_mov_b32_e32 v8, v7
.LBB18_588:
	s_or_b32 exec_lo, exec_lo, s2
	v_and_b32_e32 v17, 0xff, v8
	s_waitcnt lgkmcnt(1)
	v_mov_b32_e32 v1, v6
	s_waitcnt lgkmcnt(0)
	v_mov_b32_e32 v2, v5
.LBB18_589:
	s_or_b32 exec_lo, exec_lo, s1
	s_waitcnt lgkmcnt(0)
	v_lshlrev_b32_e32 v5, 2, v3
	v_add_nc_u32_e32 v9, 16, v3
	v_or_b32_e32 v7, 64, v5
	v_cmp_lt_u32_e32 vcc_lo, v9, v4
	v_mov_b32_e32 v4, v17
	ds_bpermute_b32 v8, v7, v17
	ds_bpermute_b32 v6, v7, v1
	;; [unrolled: 1-line block ×3, first 2 shown]
	s_and_saveexec_b32 s1, vcc_lo
	s_cbranch_execz .LBB18_597
; %bb.590:
	s_waitcnt lgkmcnt(2)
	v_and_b32_e32 v4, v17, v8
	s_mov_b32 s2, exec_lo
	v_and_b32_e32 v4, 1, v4
	v_cmpx_eq_u32_e32 1, v4
	s_xor_b32 s2, exec_lo, s2
	s_cbranch_execz .LBB18_592
; %bb.591:
	s_waitcnt lgkmcnt(1)
	v_cmp_gt_f32_e32 vcc_lo, v1, v6
                                        ; implicit-def: $vgpr8
                                        ; implicit-def: $vgpr17
	v_cndmask_b32_e32 v6, v1, v6, vcc_lo
	s_waitcnt lgkmcnt(0)
	v_cmp_lt_f32_e32 vcc_lo, v2, v7
	v_cndmask_b32_e32 v7, v2, v7, vcc_lo
                                        ; implicit-def: $vgpr2
.LBB18_592:
	s_or_saveexec_b32 s2, s2
	v_mov_b32_e32 v4, 1
	s_xor_b32 exec_lo, exec_lo, s2
	s_cbranch_execz .LBB18_596
; %bb.593:
	v_and_b32_e32 v4, 1, v17
	s_mov_b32 s3, exec_lo
	v_cmpx_eq_u32_e32 1, v4
	s_cbranch_execz .LBB18_595
; %bb.594:
	v_mov_b32_e32 v8, 1
	s_waitcnt lgkmcnt(0)
	v_mov_b32_e32 v7, v2
	v_mov_b32_e32 v6, v1
.LBB18_595:
	s_or_b32 exec_lo, exec_lo, s3
	v_mov_b32_e32 v4, v8
.LBB18_596:
	s_or_b32 exec_lo, exec_lo, s2
	v_and_b32_e32 v17, 0xff, v4
	s_waitcnt lgkmcnt(0)
	v_mov_b32_e32 v2, v7
	v_mov_b32_e32 v1, v6
.LBB18_597:
	s_or_b32 exec_lo, exec_lo, s1
	s_mov_b32 s1, exec_lo
	v_cmpx_eq_u32_e32 0, v3
	s_cbranch_execz .LBB18_599
; %bb.598:
	s_waitcnt lgkmcnt(1)
	v_lshrrev_b32_e32 v6, 5, v0
	v_mul_u32_u24_e32 v6, 12, v6
	ds_write_b8 v6, v4
	ds_write2_b32 v6, v1, v2 offset0:1 offset1:2
.LBB18_599:
	s_or_b32 exec_lo, exec_lo, s1
	s_mov_b32 s1, exec_lo
	s_waitcnt lgkmcnt(0)
	s_barrier
	buffer_gl0_inv
	v_cmpx_gt_u32_e32 8, v0
	s_cbranch_execz .LBB18_625
; %bb.600:
	v_mul_u32_u24_e32 v1, 12, v3
	v_and_b32_e32 v4, 7, v3
	s_add_i32 s0, s0, 31
	ds_read_u8 v9, v1
	ds_read2_b32 v[1:2], v1 offset0:1 offset1:2
	v_cmp_ne_u32_e32 vcc_lo, 7, v4
	v_add_nc_u32_e32 v10, 1, v4
	s_lshr_b32 s0, s0, 5
	v_add_co_ci_u32_e64 v6, null, 0, v3, vcc_lo
	v_cmp_gt_u32_e32 vcc_lo, s0, v10
	v_lshlrev_b32_e32 v7, 2, v6
	s_waitcnt lgkmcnt(1)
	v_and_b32_e32 v17, 0xff, v9
	s_waitcnt lgkmcnt(0)
	ds_bpermute_b32 v6, v7, v1
	v_mov_b32_e32 v10, v1
	v_mov_b32_e32 v11, v2
	ds_bpermute_b32 v8, v7, v17
	ds_bpermute_b32 v7, v7, v2
	s_and_saveexec_b32 s2, vcc_lo
	s_cbranch_execz .LBB18_608
; %bb.601:
	s_waitcnt lgkmcnt(1)
	v_and_b32_e32 v10, v17, v8
	s_mov_b32 s3, exec_lo
	v_and_b32_e32 v10, 1, v10
	v_cmpx_eq_u32_e32 1, v10
	s_xor_b32 s3, exec_lo, s3
	s_cbranch_execz .LBB18_603
; %bb.602:
	v_cmp_gt_f32_e32 vcc_lo, v1, v6
                                        ; implicit-def: $vgpr8
                                        ; implicit-def: $vgpr9
	v_cndmask_b32_e32 v6, v1, v6, vcc_lo
	s_waitcnt lgkmcnt(0)
	v_cmp_lt_f32_e32 vcc_lo, v2, v7
	v_cndmask_b32_e32 v7, v2, v7, vcc_lo
                                        ; implicit-def: $vgpr2
.LBB18_603:
	s_or_saveexec_b32 s3, s3
	v_mov_b32_e32 v10, 1
	s_xor_b32 exec_lo, exec_lo, s3
	s_cbranch_execz .LBB18_607
; %bb.604:
	v_and_b32_e32 v9, 1, v9
	s_mov_b32 s8, exec_lo
	v_cmpx_eq_u32_e32 1, v9
	s_cbranch_execz .LBB18_606
; %bb.605:
	v_mov_b32_e32 v8, 1
	s_waitcnt lgkmcnt(0)
	v_mov_b32_e32 v7, v2
	v_mov_b32_e32 v6, v1
.LBB18_606:
	s_or_b32 exec_lo, exec_lo, s8
	v_mov_b32_e32 v10, v8
.LBB18_607:
	s_or_b32 exec_lo, exec_lo, s3
	v_and_b32_e32 v17, 0xff, v10
	v_mov_b32_e32 v10, v6
	s_waitcnt lgkmcnt(0)
	v_mov_b32_e32 v11, v7
	v_mov_b32_e32 v2, v7
	v_mov_b32_e32 v1, v6
.LBB18_608:
	s_or_b32 exec_lo, exec_lo, s2
	v_cmp_gt_u32_e32 vcc_lo, 6, v4
	s_waitcnt lgkmcnt(1)
	v_add_nc_u32_e32 v8, 2, v4
	s_mov_b32 s2, exec_lo
	v_cndmask_b32_e64 v6, 0, 2, vcc_lo
	v_add_lshl_u32 v6, v6, v3, 2
	s_waitcnt lgkmcnt(0)
	ds_bpermute_b32 v7, v6, v17
	ds_bpermute_b32 v3, v6, v10
	;; [unrolled: 1-line block ×3, first 2 shown]
	v_cmpx_gt_u32_e64 s0, v8
	s_cbranch_execz .LBB18_616
; %bb.609:
	s_waitcnt lgkmcnt(2)
	v_and_b32_e32 v8, v17, v7
	s_mov_b32 s3, exec_lo
	v_and_b32_e32 v8, 1, v8
	v_cmpx_eq_u32_e32 1, v8
	s_xor_b32 s3, exec_lo, s3
	s_cbranch_execz .LBB18_611
; %bb.610:
	s_waitcnt lgkmcnt(1)
	v_cmp_gt_f32_e32 vcc_lo, v1, v3
                                        ; implicit-def: $vgpr7
                                        ; implicit-def: $vgpr17
	v_cndmask_b32_e32 v3, v1, v3, vcc_lo
	s_waitcnt lgkmcnt(0)
	v_cmp_lt_f32_e32 vcc_lo, v2, v6
	v_cndmask_b32_e32 v6, v2, v6, vcc_lo
                                        ; implicit-def: $vgpr2
.LBB18_611:
	s_or_saveexec_b32 s3, s3
	v_mov_b32_e32 v8, 1
	s_xor_b32 exec_lo, exec_lo, s3
	s_cbranch_execz .LBB18_615
; %bb.612:
	v_and_b32_e32 v8, 1, v17
	s_mov_b32 s8, exec_lo
	v_cmpx_eq_u32_e32 1, v8
	s_cbranch_execz .LBB18_614
; %bb.613:
	v_mov_b32_e32 v7, 1
	s_waitcnt lgkmcnt(0)
	v_mov_b32_e32 v6, v2
	v_mov_b32_e32 v3, v1
.LBB18_614:
	s_or_b32 exec_lo, exec_lo, s8
	v_mov_b32_e32 v8, v7
.LBB18_615:
	s_or_b32 exec_lo, exec_lo, s3
	v_and_b32_e32 v17, 0xff, v8
	s_waitcnt lgkmcnt(1)
	v_mov_b32_e32 v10, v3
	s_waitcnt lgkmcnt(0)
	v_mov_b32_e32 v11, v6
	v_mov_b32_e32 v2, v6
	;; [unrolled: 1-line block ×3, first 2 shown]
.LBB18_616:
	s_or_b32 exec_lo, exec_lo, s2
	v_or_b32_e32 v5, 16, v5
	v_add_nc_u32_e32 v4, 4, v4
	s_waitcnt lgkmcnt(0)
	ds_bpermute_b32 v6, v5, v17
	ds_bpermute_b32 v3, v5, v10
	;; [unrolled: 1-line block ×3, first 2 shown]
	v_cmp_gt_u32_e32 vcc_lo, s0, v4
	s_and_saveexec_b32 s0, vcc_lo
	s_cbranch_execz .LBB18_624
; %bb.617:
	s_waitcnt lgkmcnt(2)
	v_and_b32_e32 v4, v17, v6
	s_mov_b32 s2, exec_lo
	v_and_b32_e32 v4, 1, v4
	v_cmpx_eq_u32_e32 1, v4
	s_xor_b32 s2, exec_lo, s2
	s_cbranch_execz .LBB18_619
; %bb.618:
	s_waitcnt lgkmcnt(1)
	v_cmp_gt_f32_e32 vcc_lo, v1, v3
                                        ; implicit-def: $vgpr6
                                        ; implicit-def: $vgpr17
	v_cndmask_b32_e32 v3, v1, v3, vcc_lo
	s_waitcnt lgkmcnt(0)
	v_cmp_lt_f32_e32 vcc_lo, v2, v5
	v_cndmask_b32_e32 v5, v2, v5, vcc_lo
                                        ; implicit-def: $vgpr2
.LBB18_619:
	s_or_saveexec_b32 s2, s2
	v_mov_b32_e32 v4, 1
	s_xor_b32 exec_lo, exec_lo, s2
	s_cbranch_execz .LBB18_623
; %bb.620:
	v_and_b32_e32 v4, 1, v17
	s_mov_b32 s3, exec_lo
	v_cmpx_eq_u32_e32 1, v4
	s_cbranch_execz .LBB18_622
; %bb.621:
	v_mov_b32_e32 v6, 1
	s_waitcnt lgkmcnt(0)
	v_mov_b32_e32 v5, v2
	v_mov_b32_e32 v3, v1
.LBB18_622:
	s_or_b32 exec_lo, exec_lo, s3
	v_mov_b32_e32 v4, v6
.LBB18_623:
	s_or_b32 exec_lo, exec_lo, s2
	s_waitcnt lgkmcnt(0)
	v_mov_b32_e32 v2, v5
	v_mov_b32_e32 v1, v3
	;; [unrolled: 1-line block ×3, first 2 shown]
.LBB18_624:
	s_or_b32 exec_lo, exec_lo, s0
.LBB18_625:
	s_or_b32 exec_lo, exec_lo, s1
.LBB18_626:
	s_mov_b32 s0, exec_lo
                                        ; implicit-def: $vgpr4
                                        ; implicit-def: $vgpr6
	v_cmpx_eq_u32_e32 0, v0
	s_xor_b32 s0, exec_lo, s0
	s_cbranch_execz .LBB18_634
; %bb.627:
	v_mov_b32_e32 v4, s25
	s_waitcnt lgkmcnt(1)
	v_mov_b32_e32 v3, s24
	v_mov_b32_e32 v6, s26
	s_cmp_eq_u64 s[22:23], 0
	s_cbranch_scc1 .LBB18_633
; %bb.628:
	v_and_b32_e32 v3, 1, v17
	s_bitcmp1_b32 s26, 0
                                        ; implicit-def: $vgpr6
	s_cselect_b32 s1, -1, 0
	v_cmp_eq_u32_e32 vcc_lo, 1, v3
                                        ; implicit-def: $vgpr4
	s_and_b32 s2, s1, vcc_lo
	s_xor_b32 s2, s2, -1
	s_and_saveexec_b32 s3, s2
	s_xor_b32 s2, exec_lo, s3
	s_cbranch_execz .LBB18_630
; %bb.629:
	v_cndmask_b32_e64 v6, v17, 1, s1
	v_cndmask_b32_e64 v3, v1, s24, s1
	s_waitcnt lgkmcnt(0)
	v_cndmask_b32_e64 v4, v2, s25, s1
                                        ; implicit-def: $vgpr1
.LBB18_630:
	s_andn2_saveexec_b32 s1, s2
	s_cbranch_execz .LBB18_632
; %bb.631:
	v_cmp_gt_f32_e32 vcc_lo, s24, v1
	v_mov_b32_e32 v6, 1
	v_cndmask_b32_e32 v3, s24, v1, vcc_lo
	s_waitcnt lgkmcnt(0)
	v_cmp_lt_f32_e32 vcc_lo, s25, v2
	v_cndmask_b32_e32 v4, s25, v2, vcc_lo
.LBB18_632:
	s_or_b32 exec_lo, exec_lo, s1
.LBB18_633:
	s_or_b32 s12, s12, exec_lo
.LBB18_634:
	s_or_b32 exec_lo, exec_lo, s0
	s_branch .LBB18_709
.LBB18_635:
	s_cmp_eq_u32 s27, 4
	s_cbranch_scc0 .LBB18_708
; %bb.636:
	s_lshl_b32 s1, s6, 10
	s_mul_i32 s0, s6, 0x3000
	s_lshr_b64 s[8:9], s[22:23], 10
	s_mul_hi_u32 s3, s1, 12
	s_mov_b32 s7, 0
	s_add_u32 s2, s20, s0
	s_addc_u32 s3, s21, s3
	s_cmp_lg_u64 s[8:9], s[6:7]
	s_cbranch_scc0 .LBB18_710
; %bb.637:
	s_waitcnt lgkmcnt(0)
	v_mad_u64_u32 v[1:2], null, v0, 12, s[2:3]
	s_mov_b32 s0, exec_lo
	v_add_co_u32 v3, vcc_lo, 0x800, v1
	v_add_co_ci_u32_e64 v4, null, 0, v2, vcc_lo
	v_add_co_u32 v5, vcc_lo, 0x1800, v1
	s_clause 0x1
	global_load_ubyte v12, v[1:2], off
	global_load_ubyte v11, v[3:4], off offset:1024
	v_add_co_ci_u32_e64 v6, null, 0, v2, vcc_lo
	v_add_co_u32 v13, vcc_lo, 0x2000, v1
	v_add_co_ci_u32_e64 v14, null, 0, v2, vcc_lo
	s_clause 0x5
	global_load_dwordx2 v[1:2], v[1:2], off offset:4
	global_load_dwordx2 v[7:8], v[3:4], off offset:1028
	global_load_ubyte v10, v[5:6], off
	global_load_dwordx2 v[5:6], v[5:6], off offset:4
	global_load_ubyte v9, v[13:14], off offset:1024
	global_load_dwordx2 v[3:4], v[13:14], off offset:1028
	s_waitcnt vmcnt(6)
	v_and_b32_e32 v13, v11, v12
	v_and_b32_e32 v13, 1, v13
	v_cmpx_eq_u32_e32 1, v13
	s_xor_b32 s0, exec_lo, s0
	s_cbranch_execz .LBB18_639
; %bb.638:
	s_waitcnt vmcnt(4)
	v_cmp_lt_f32_e32 vcc_lo, v7, v1
                                        ; implicit-def: $vgpr12
                                        ; implicit-def: $vgpr11
	v_cndmask_b32_e32 v1, v1, v7, vcc_lo
	v_cmp_lt_f32_e32 vcc_lo, v2, v8
	v_cndmask_b32_e32 v2, v2, v8, vcc_lo
                                        ; implicit-def: $vgpr8
.LBB18_639:
	s_or_saveexec_b32 s0, s0
	s_mov_b32 s9, -1
	s_xor_b32 exec_lo, exec_lo, s0
	s_cbranch_execz .LBB18_643
; %bb.640:
	v_and_b32_e32 v12, 1, v12
	s_mov_b32 s8, -1
	v_cmp_eq_u32_e32 vcc_lo, 1, v12
	s_xor_b32 s10, vcc_lo, -1
	s_and_saveexec_b32 s9, s10
	s_cbranch_execz .LBB18_642
; %bb.641:
	s_waitcnt vmcnt(5)
	v_and_b32_e32 v1, 1, v11
	s_waitcnt vmcnt(4)
	v_mov_b32_e32 v2, v8
	v_cmp_eq_u32_e32 vcc_lo, 1, v1
	v_mov_b32_e32 v1, v7
	s_orn2_b32 s8, vcc_lo, exec_lo
.LBB18_642:
	s_or_b32 exec_lo, exec_lo, s9
	s_orn2_b32 s9, s8, exec_lo
.LBB18_643:
	s_or_b32 exec_lo, exec_lo, s0
	s_waitcnt vmcnt(3)
	v_and_b32_e32 v7, 1, v10
	v_cmp_eq_u32_e32 vcc_lo, 1, v7
	s_and_b32 s0, s9, vcc_lo
	s_xor_b32 s8, s0, -1
                                        ; implicit-def: $sgpr0
	s_and_saveexec_b32 s10, s8
	s_xor_b32 s8, exec_lo, s10
	s_cbranch_execz .LBB18_647
; %bb.644:
	s_xor_b32 s10, s9, -1
	s_mov_b32 s0, -1
	s_and_saveexec_b32 s9, s10
	s_cbranch_execz .LBB18_646
; %bb.645:
	s_waitcnt vmcnt(2)
	v_mov_b32_e32 v2, v6
	v_mov_b32_e32 v1, v5
	s_orn2_b32 s0, vcc_lo, exec_lo
.LBB18_646:
	s_or_b32 exec_lo, exec_lo, s9
                                        ; implicit-def: $vgpr5_vgpr6
.LBB18_647:
	s_andn2_saveexec_b32 s8, s8
	s_cbranch_execz .LBB18_649
; %bb.648:
	s_waitcnt vmcnt(2)
	v_cmp_lt_f32_e32 vcc_lo, v5, v1
	s_or_b32 s0, s0, exec_lo
	v_cndmask_b32_e32 v1, v1, v5, vcc_lo
	v_cmp_lt_f32_e32 vcc_lo, v2, v6
	v_cndmask_b32_e32 v2, v2, v6, vcc_lo
.LBB18_649:
	s_or_b32 exec_lo, exec_lo, s8
	s_waitcnt vmcnt(1)
	v_and_b32_e32 v5, 1, v9
	v_cmp_eq_u32_e32 vcc_lo, 1, v5
                                        ; implicit-def: $vgpr5
	s_and_b32 s8, s0, vcc_lo
	s_xor_b32 s8, s8, -1
	s_and_saveexec_b32 s9, s8
	s_xor_b32 s8, exec_lo, s9
	s_cbranch_execz .LBB18_653
; %bb.650:
	v_mov_b32_e32 v5, 1
	s_xor_b32 s9, s0, -1
	s_and_saveexec_b32 s0, s9
	s_cbranch_execz .LBB18_652
; %bb.651:
	s_waitcnt vmcnt(0)
	v_mov_b32_e32 v2, v4
	v_mov_b32_e32 v1, v3
	;; [unrolled: 1-line block ×3, first 2 shown]
.LBB18_652:
	s_or_b32 exec_lo, exec_lo, s0
                                        ; implicit-def: $vgpr3_vgpr4
.LBB18_653:
	s_andn2_saveexec_b32 s0, s8
	s_cbranch_execz .LBB18_655
; %bb.654:
	s_waitcnt vmcnt(0)
	v_cmp_lt_f32_e32 vcc_lo, v3, v1
	v_mov_b32_e32 v5, 1
	v_cndmask_b32_e32 v1, v1, v3, vcc_lo
	v_cmp_lt_f32_e32 vcc_lo, v2, v4
	v_cndmask_b32_e32 v2, v2, v4, vcc_lo
.LBB18_655:
	s_or_b32 exec_lo, exec_lo, s0
	v_and_b32_e32 v7, 0xff, v5
	s_waitcnt vmcnt(0)
	v_and_b32_e32 v4, 1, v5
                                        ; implicit-def: $vgpr6
	v_mov_b32_dpp v3, v7 quad_perm:[1,0,3,2] row_mask:0xf bank_mask:0xf
	v_cmp_eq_u32_e64 s0, 1, v4
	v_mov_b32_dpp v4, v2 quad_perm:[1,0,3,2] row_mask:0xf bank_mask:0xf
	v_and_b32_e32 v3, 1, v3
	v_cmp_eq_u32_e32 vcc_lo, 1, v3
	v_mov_b32_dpp v3, v1 quad_perm:[1,0,3,2] row_mask:0xf bank_mask:0xf
	s_and_b32 s0, vcc_lo, s0
	s_xor_b32 s0, s0, -1
	s_and_saveexec_b32 s8, s0
	s_xor_b32 s0, exec_lo, s8
	s_cbranch_execz .LBB18_659
; %bb.656:
	v_mov_b32_e32 v6, 1
	s_xor_b32 s9, vcc_lo, -1
	s_and_saveexec_b32 s8, s9
; %bb.657:
	v_mov_b32_e32 v4, v2
	v_mov_b32_e32 v3, v1
	;; [unrolled: 1-line block ×3, first 2 shown]
; %bb.658:
	s_or_b32 exec_lo, exec_lo, s8
                                        ; implicit-def: $vgpr1
.LBB18_659:
	s_andn2_saveexec_b32 s0, s0
; %bb.660:
	v_cmp_lt_f32_e32 vcc_lo, v1, v3
	v_mov_b32_e32 v6, 1
	v_cndmask_b32_e32 v3, v3, v1, vcc_lo
	v_cmp_gt_f32_e32 vcc_lo, v2, v4
	v_cndmask_b32_e32 v4, v4, v2, vcc_lo
; %bb.661:
	s_or_b32 exec_lo, exec_lo, s0
	v_mov_b32_dpp v1, v6 quad_perm:[2,3,0,1] row_mask:0xf bank_mask:0xf
	v_mov_b32_dpp v5, v4 quad_perm:[2,3,0,1] row_mask:0xf bank_mask:0xf
	v_and_b32_e32 v2, v1, v6
	v_and_b32_e32 v7, 1, v1
	v_mov_b32_dpp v1, v3 quad_perm:[2,3,0,1] row_mask:0xf bank_mask:0xf
	v_and_b32_e32 v2, 1, v2
	v_cmp_ne_u32_e32 vcc_lo, 1, v7
                                        ; implicit-def: $vgpr7
	v_cmp_ne_u32_e64 s0, 1, v2
	s_and_saveexec_b32 s8, s0
	s_xor_b32 s0, exec_lo, s8
	s_cbranch_execz .LBB18_665
; %bb.662:
	v_mov_b32_e32 v7, 1
	s_and_saveexec_b32 s8, vcc_lo
; %bb.663:
	v_mov_b32_e32 v5, v4
	v_mov_b32_e32 v1, v3
	;; [unrolled: 1-line block ×3, first 2 shown]
; %bb.664:
	s_or_b32 exec_lo, exec_lo, s8
                                        ; implicit-def: $vgpr3
                                        ; implicit-def: $vgpr4
.LBB18_665:
	s_andn2_saveexec_b32 s0, s0
; %bb.666:
	v_cmp_lt_f32_e32 vcc_lo, v3, v1
	v_mov_b32_e32 v7, 1
	v_cndmask_b32_e32 v1, v1, v3, vcc_lo
	v_cmp_gt_f32_e32 vcc_lo, v4, v5
	v_cndmask_b32_e32 v5, v5, v4, vcc_lo
; %bb.667:
	s_or_b32 exec_lo, exec_lo, s0
	v_mov_b32_dpp v2, v7 row_ror:4 row_mask:0xf bank_mask:0xf
	v_and_b32_e32 v3, v2, v7
	v_and_b32_e32 v4, 1, v2
	v_mov_b32_dpp v2, v1 row_ror:4 row_mask:0xf bank_mask:0xf
	v_and_b32_e32 v6, 1, v3
	v_mov_b32_dpp v3, v5 row_ror:4 row_mask:0xf bank_mask:0xf
	v_cmp_ne_u32_e32 vcc_lo, 1, v4
	v_cmp_ne_u32_e64 s0, 1, v6
                                        ; implicit-def: $vgpr6
	s_and_saveexec_b32 s8, s0
	s_xor_b32 s0, exec_lo, s8
	s_cbranch_execz .LBB18_671
; %bb.668:
	v_mov_b32_e32 v6, 1
	s_and_saveexec_b32 s8, vcc_lo
; %bb.669:
	v_mov_b32_e32 v3, v5
	v_mov_b32_e32 v2, v1
	;; [unrolled: 1-line block ×3, first 2 shown]
; %bb.670:
	s_or_b32 exec_lo, exec_lo, s8
                                        ; implicit-def: $vgpr1
                                        ; implicit-def: $vgpr5
.LBB18_671:
	s_andn2_saveexec_b32 s0, s0
; %bb.672:
	v_cmp_lt_f32_e32 vcc_lo, v1, v2
	v_mov_b32_e32 v6, 1
	v_cndmask_b32_e32 v2, v2, v1, vcc_lo
	v_cmp_gt_f32_e32 vcc_lo, v5, v3
	v_cndmask_b32_e32 v3, v3, v5, vcc_lo
; %bb.673:
	s_or_b32 exec_lo, exec_lo, s0
	v_mov_b32_dpp v1, v6 row_ror:8 row_mask:0xf bank_mask:0xf
	v_and_b32_e32 v4, v1, v6
	v_and_b32_e32 v5, 1, v1
	v_mov_b32_dpp v1, v2 row_ror:8 row_mask:0xf bank_mask:0xf
	v_and_b32_e32 v7, 1, v4
	v_mov_b32_dpp v4, v3 row_ror:8 row_mask:0xf bank_mask:0xf
	v_cmp_ne_u32_e32 vcc_lo, 1, v5
                                        ; implicit-def: $vgpr5
	v_cmp_ne_u32_e64 s0, 1, v7
	s_and_saveexec_b32 s8, s0
	s_xor_b32 s0, exec_lo, s8
	s_cbranch_execz .LBB18_677
; %bb.674:
	v_mov_b32_e32 v5, 1
	s_and_saveexec_b32 s8, vcc_lo
; %bb.675:
	v_mov_b32_e32 v4, v3
	v_mov_b32_e32 v1, v2
	;; [unrolled: 1-line block ×3, first 2 shown]
; %bb.676:
	s_or_b32 exec_lo, exec_lo, s8
                                        ; implicit-def: $vgpr2
                                        ; implicit-def: $vgpr3
.LBB18_677:
	s_andn2_saveexec_b32 s0, s0
; %bb.678:
	v_cmp_lt_f32_e32 vcc_lo, v2, v1
	v_mov_b32_e32 v5, 1
	v_cndmask_b32_e32 v1, v1, v2, vcc_lo
	v_cmp_gt_f32_e32 vcc_lo, v3, v4
	v_cndmask_b32_e32 v4, v4, v3, vcc_lo
; %bb.679:
	s_or_b32 exec_lo, exec_lo, s0
	ds_swizzle_b32 v6, v5 offset:swizzle(BROADCAST,32,15)
	ds_swizzle_b32 v3, v1 offset:swizzle(BROADCAST,32,15)
	;; [unrolled: 1-line block ×3, first 2 shown]
	s_waitcnt lgkmcnt(2)
	v_and_b32_e32 v7, v6, v5
	v_and_b32_e32 v6, 1, v6
	;; [unrolled: 1-line block ×3, first 2 shown]
	v_cmp_ne_u32_e32 vcc_lo, 1, v6
                                        ; implicit-def: $vgpr6
	v_cmp_ne_u32_e64 s0, 1, v7
	s_and_saveexec_b32 s8, s0
	s_xor_b32 s0, exec_lo, s8
	s_cbranch_execz .LBB18_683
; %bb.680:
	v_mov_b32_e32 v6, 1
	s_and_saveexec_b32 s8, vcc_lo
	s_cbranch_execz .LBB18_682
; %bb.681:
	s_waitcnt lgkmcnt(0)
	v_mov_b32_e32 v2, v4
	v_mov_b32_e32 v3, v1
	;; [unrolled: 1-line block ×3, first 2 shown]
.LBB18_682:
	s_or_b32 exec_lo, exec_lo, s8
                                        ; implicit-def: $vgpr1
                                        ; implicit-def: $vgpr4
.LBB18_683:
	s_andn2_saveexec_b32 s0, s0
	s_cbranch_execz .LBB18_685
; %bb.684:
	s_waitcnt lgkmcnt(1)
	v_cmp_lt_f32_e32 vcc_lo, v1, v3
	v_mov_b32_e32 v6, 1
	v_cndmask_b32_e32 v3, v3, v1, vcc_lo
	s_waitcnt lgkmcnt(0)
	v_cmp_gt_f32_e32 vcc_lo, v4, v2
	v_cndmask_b32_e32 v2, v2, v4, vcc_lo
.LBB18_685:
	s_or_b32 exec_lo, exec_lo, s0
	v_mov_b32_e32 v4, 0
	s_mov_b32 s0, exec_lo
	ds_bpermute_b32 v9, v4, v6 offset:124
	s_waitcnt lgkmcnt(2)
	ds_bpermute_b32 v1, v4, v3 offset:124
	s_waitcnt lgkmcnt(2)
	ds_bpermute_b32 v2, v4, v2 offset:124
	v_mbcnt_lo_u32_b32 v3, -1, 0
	v_cmpx_eq_u32_e32 0, v3
	s_cbranch_execz .LBB18_687
; %bb.686:
	v_lshrrev_b32_e32 v4, 5, v0
	v_mul_u32_u24_e32 v4, 12, v4
	s_waitcnt lgkmcnt(2)
	ds_write_b8 v4, v9 offset:384
	s_waitcnt lgkmcnt(1)
	ds_write2_b32 v4, v1, v2 offset0:97 offset1:98
.LBB18_687:
	s_or_b32 exec_lo, exec_lo, s0
	s_mov_b32 s0, exec_lo
	s_waitcnt lgkmcnt(0)
	s_barrier
	buffer_gl0_inv
	v_cmpx_gt_u32_e32 32, v0
	s_cbranch_execz .LBB18_707
; %bb.688:
	v_and_b32_e32 v5, 7, v3
	s_mov_b32 s8, exec_lo
	v_mul_u32_u24_e32 v1, 12, v5
	v_cmp_ne_u32_e32 vcc_lo, 7, v5
	ds_read_u8 v9, v1 offset:384
	v_add_co_ci_u32_e64 v4, null, 0, v3, vcc_lo
	ds_read2_b32 v[1:2], v1 offset0:97 offset1:98
	v_lshlrev_b32_e32 v4, 2, v4
	s_waitcnt lgkmcnt(1)
	v_and_b32_e32 v6, 0xff, v9
	ds_bpermute_b32 v7, v4, v6
	s_waitcnt lgkmcnt(1)
	ds_bpermute_b32 v6, v4, v1
	ds_bpermute_b32 v4, v4, v2
	s_waitcnt lgkmcnt(2)
	v_and_b32_e32 v8, v9, v7
	v_and_b32_e32 v8, 1, v8
	v_cmpx_eq_u32_e32 1, v8
	s_xor_b32 s8, exec_lo, s8
	s_cbranch_execz .LBB18_690
; %bb.689:
	s_waitcnt lgkmcnt(1)
	v_cmp_gt_f32_e32 vcc_lo, v1, v6
                                        ; implicit-def: $vgpr7
                                        ; implicit-def: $vgpr9
	v_cndmask_b32_e32 v6, v1, v6, vcc_lo
	s_waitcnt lgkmcnt(0)
	v_cmp_lt_f32_e32 vcc_lo, v2, v4
	v_cndmask_b32_e32 v4, v2, v4, vcc_lo
                                        ; implicit-def: $vgpr2
.LBB18_690:
	s_or_saveexec_b32 s8, s8
	v_mov_b32_e32 v8, 1
	s_xor_b32 exec_lo, exec_lo, s8
	s_cbranch_execz .LBB18_694
; %bb.691:
	v_and_b32_e32 v8, 1, v9
	s_mov_b32 s9, exec_lo
	v_cmpx_eq_u32_e32 1, v8
	s_cbranch_execz .LBB18_693
; %bb.692:
	v_mov_b32_e32 v7, 1
	s_waitcnt lgkmcnt(0)
	v_mov_b32_e32 v4, v2
	v_mov_b32_e32 v6, v1
.LBB18_693:
	s_or_b32 exec_lo, exec_lo, s9
	v_mov_b32_e32 v8, v7
.LBB18_694:
	s_or_b32 exec_lo, exec_lo, s8
	v_cmp_gt_u32_e32 vcc_lo, 6, v5
	v_and_b32_e32 v2, 0xff, v8
	s_mov_b32 s8, exec_lo
	v_cndmask_b32_e64 v1, 0, 2, vcc_lo
	v_add_lshl_u32 v5, v1, v3, 2
	ds_bpermute_b32 v1, v5, v2
	s_waitcnt lgkmcnt(2)
	ds_bpermute_b32 v7, v5, v6
	s_waitcnt lgkmcnt(2)
	;; [unrolled: 2-line block ×3, first 2 shown]
	v_and_b32_e32 v2, v8, v1
	v_and_b32_e32 v2, 1, v2
	v_cmpx_eq_u32_e32 1, v2
	s_xor_b32 s8, exec_lo, s8
	s_cbranch_execz .LBB18_696
; %bb.695:
	s_waitcnt lgkmcnt(1)
	v_cmp_gt_f32_e32 vcc_lo, v6, v7
                                        ; implicit-def: $vgpr1
                                        ; implicit-def: $vgpr8
	v_cndmask_b32_e32 v7, v6, v7, vcc_lo
	s_waitcnt lgkmcnt(0)
	v_cmp_lt_f32_e32 vcc_lo, v4, v5
                                        ; implicit-def: $vgpr6
	v_cndmask_b32_e32 v5, v4, v5, vcc_lo
                                        ; implicit-def: $vgpr4
.LBB18_696:
	s_or_saveexec_b32 s8, s8
	v_lshlrev_b32_e32 v2, 2, v3
	v_mov_b32_e32 v10, 1
	s_xor_b32 exec_lo, exec_lo, s8
	s_cbranch_execz .LBB18_700
; %bb.697:
	v_and_b32_e32 v3, 1, v8
	s_mov_b32 s9, exec_lo
	v_cmpx_eq_u32_e32 1, v3
	s_cbranch_execz .LBB18_699
; %bb.698:
	v_mov_b32_e32 v1, 1
	s_waitcnt lgkmcnt(0)
	v_mov_b32_e32 v5, v4
	v_mov_b32_e32 v7, v6
.LBB18_699:
	s_or_b32 exec_lo, exec_lo, s9
	v_mov_b32_e32 v10, v1
.LBB18_700:
	s_or_b32 exec_lo, exec_lo, s8
	v_and_b32_e32 v1, 0xff, v10
	v_or_b32_e32 v2, 16, v2
	s_mov_b32 s8, exec_lo
	ds_bpermute_b32 v3, v2, v1
	s_waitcnt lgkmcnt(2)
	ds_bpermute_b32 v1, v2, v7
	s_waitcnt lgkmcnt(2)
	;; [unrolled: 2-line block ×3, first 2 shown]
	v_and_b32_e32 v4, v10, v3
	v_and_b32_e32 v4, 1, v4
	v_cmpx_eq_u32_e32 1, v4
	s_xor_b32 s8, exec_lo, s8
	s_cbranch_execz .LBB18_702
; %bb.701:
	s_waitcnt lgkmcnt(1)
	v_cmp_gt_f32_e32 vcc_lo, v7, v1
                                        ; implicit-def: $vgpr3
                                        ; implicit-def: $vgpr10
	v_cndmask_b32_e32 v1, v7, v1, vcc_lo
	s_waitcnt lgkmcnt(0)
	v_cmp_lt_f32_e32 vcc_lo, v5, v2
                                        ; implicit-def: $vgpr7
	v_cndmask_b32_e32 v2, v5, v2, vcc_lo
                                        ; implicit-def: $vgpr5
.LBB18_702:
	s_or_saveexec_b32 s8, s8
	v_mov_b32_e32 v9, 1
	s_xor_b32 exec_lo, exec_lo, s8
	s_cbranch_execz .LBB18_706
; %bb.703:
	v_and_b32_e32 v4, 1, v10
	s_mov_b32 s9, exec_lo
	v_cmpx_eq_u32_e32 1, v4
	s_cbranch_execz .LBB18_705
; %bb.704:
	v_mov_b32_e32 v3, 1
	s_waitcnt lgkmcnt(0)
	v_mov_b32_e32 v2, v5
	v_mov_b32_e32 v1, v7
.LBB18_705:
	s_or_b32 exec_lo, exec_lo, s9
	v_mov_b32_e32 v9, v3
.LBB18_706:
	s_or_b32 exec_lo, exec_lo, s8
.LBB18_707:
	s_or_b32 exec_lo, exec_lo, s0
	s_branch .LBB18_812
.LBB18_708:
                                        ; implicit-def: $vgpr4
                                        ; implicit-def: $vgpr6
.LBB18_709:
	s_branch .LBB18_1032
.LBB18_710:
                                        ; implicit-def: $vgpr2
                                        ; implicit-def: $vgpr9
	s_cbranch_execz .LBB18_812
; %bb.711:
	v_mov_b32_e32 v9, 0
	v_mov_b32_e32 v8, 0
	s_waitcnt lgkmcnt(0)
	v_mov_b32_e32 v2, 0
	v_mov_b32_e32 v1, 0
	s_sub_i32 s8, s22, s1
	s_mov_b32 s0, exec_lo
	v_cmpx_gt_u32_e64 s8, v0
	s_cbranch_execz .LBB18_713
; %bb.712:
	v_mad_u64_u32 v[1:2], null, v0, 12, s[2:3]
	s_clause 0x1
	global_load_ubyte v9, v[1:2], off
	global_load_dwordx2 v[1:2], v[1:2], off offset:4
.LBB18_713:
	s_or_b32 exec_lo, exec_lo, s0
	v_or_b32_e32 v3, 0x100, v0
	v_mov_b32_e32 v7, 0
	v_mov_b32_e32 v12, 0
	v_cmp_gt_u32_e64 s1, s8, v3
	s_and_saveexec_b32 s0, s1
	s_cbranch_execz .LBB18_715
; %bb.714:
	v_mad_u64_u32 v[3:4], null, v3, 12, s[2:3]
	s_clause 0x1
	global_load_ubyte v12, v[3:4], off
	global_load_dwordx2 v[7:8], v[3:4], off offset:4
.LBB18_715:
	s_or_b32 exec_lo, exec_lo, s0
	v_or_b32_e32 v3, 0x200, v0
	v_mov_b32_e32 v11, 0
	v_mov_b32_e32 v10, 0
	;; [unrolled: 1-line block ×4, first 2 shown]
	v_cmp_gt_u32_e64 s0, s8, v3
	s_and_saveexec_b32 s9, s0
	s_cbranch_execz .LBB18_717
; %bb.716:
	v_mad_u64_u32 v[3:4], null, v3, 12, s[2:3]
	s_clause 0x1
	global_load_ubyte v11, v[3:4], off
	global_load_dwordx2 v[5:6], v[3:4], off offset:4
.LBB18_717:
	s_or_b32 exec_lo, exec_lo, s9
	v_or_b32_e32 v13, 0x300, v0
	v_mov_b32_e32 v3, 0
	v_mov_b32_e32 v4, 0
	v_cmp_gt_u32_e32 vcc_lo, s8, v13
	s_and_saveexec_b32 s9, vcc_lo
	s_cbranch_execnz .LBB18_721
; %bb.718:
	s_or_b32 exec_lo, exec_lo, s9
	s_and_saveexec_b32 s3, s1
	s_cbranch_execnz .LBB18_722
.LBB18_719:
	s_or_b32 exec_lo, exec_lo, s3
	s_and_saveexec_b32 s2, s0
	s_cbranch_execnz .LBB18_729
.LBB18_720:
	s_or_b32 exec_lo, exec_lo, s2
	s_and_saveexec_b32 s1, vcc_lo
	s_cbranch_execnz .LBB18_736
	s_branch .LBB18_743
.LBB18_721:
	v_mad_u64_u32 v[3:4], null, v13, 12, s[2:3]
	s_clause 0x1
	global_load_ubyte v10, v[3:4], off
	global_load_dwordx2 v[3:4], v[3:4], off offset:4
	s_or_b32 exec_lo, exec_lo, s9
	s_and_saveexec_b32 s3, s1
	s_cbranch_execz .LBB18_719
.LBB18_722:
	s_waitcnt vmcnt(1)
	v_and_b32_e32 v9, 1, v9
	v_and_b32_e32 v13, 1, v12
	v_cmp_eq_u32_e64 s1, 1, v9
	v_cmp_eq_u32_e64 s2, 1, v13
                                        ; implicit-def: $vgpr9
	s_and_b32 s2, s1, s2
	s_xor_b32 s2, s2, -1
	s_and_saveexec_b32 s9, s2
	s_xor_b32 s2, exec_lo, s9
	s_cbranch_execz .LBB18_726
; %bb.723:
	v_mov_b32_e32 v9, 1
	s_xor_b32 s9, s1, -1
	s_and_saveexec_b32 s1, s9
	s_cbranch_execz .LBB18_725
; %bb.724:
	v_and_b32_e32 v9, 0xff, v12
	s_waitcnt vmcnt(0)
	v_mov_b32_e32 v2, v8
	v_mov_b32_e32 v1, v7
.LBB18_725:
	s_or_b32 exec_lo, exec_lo, s1
                                        ; implicit-def: $vgpr7
.LBB18_726:
	s_andn2_saveexec_b32 s2, s2
	s_cbranch_execz .LBB18_728
; %bb.727:
	s_waitcnt vmcnt(0)
	v_cmp_lt_f32_e64 s1, v7, v1
	v_mov_b32_e32 v9, 1
	v_cndmask_b32_e64 v1, v1, v7, s1
	v_cmp_lt_f32_e64 s1, v2, v8
	v_cndmask_b32_e64 v2, v2, v8, s1
.LBB18_728:
	s_or_b32 exec_lo, exec_lo, s2
	s_or_b32 exec_lo, exec_lo, s3
	s_and_saveexec_b32 s2, s0
	s_cbranch_execz .LBB18_720
.LBB18_729:
	s_waitcnt vmcnt(0)
	v_and_b32_e32 v7, 1, v9
	v_and_b32_e32 v8, 1, v11
                                        ; implicit-def: $vgpr9
	v_cmp_eq_u32_e64 s0, 1, v7
	v_cmp_eq_u32_e64 s1, 1, v8
	s_and_b32 s1, s0, s1
	s_xor_b32 s1, s1, -1
	s_and_saveexec_b32 s3, s1
	s_xor_b32 s1, exec_lo, s3
	s_cbranch_execz .LBB18_733
; %bb.730:
	v_mov_b32_e32 v9, 1
	s_xor_b32 s3, s0, -1
	s_and_saveexec_b32 s0, s3
; %bb.731:
	v_and_b32_e32 v9, 0xff, v11
	v_mov_b32_e32 v2, v6
	v_mov_b32_e32 v1, v5
; %bb.732:
	s_or_b32 exec_lo, exec_lo, s0
                                        ; implicit-def: $vgpr5
.LBB18_733:
	s_andn2_saveexec_b32 s1, s1
; %bb.734:
	v_cmp_lt_f32_e64 s0, v5, v1
	v_mov_b32_e32 v9, 1
	v_cndmask_b32_e64 v1, v1, v5, s0
	v_cmp_lt_f32_e64 s0, v2, v6
	v_cndmask_b32_e64 v2, v2, v6, s0
; %bb.735:
	s_or_b32 exec_lo, exec_lo, s1
	s_or_b32 exec_lo, exec_lo, s2
	s_and_saveexec_b32 s1, vcc_lo
	s_cbranch_execz .LBB18_743
.LBB18_736:
	s_waitcnt vmcnt(0)
	v_and_b32_e32 v5, 1, v9
	v_and_b32_e32 v6, 1, v10
                                        ; implicit-def: $vgpr9
	v_cmp_eq_u32_e32 vcc_lo, 1, v5
	v_cmp_eq_u32_e64 s0, 1, v6
	s_and_b32 s0, vcc_lo, s0
	s_xor_b32 s0, s0, -1
	s_and_saveexec_b32 s2, s0
	s_xor_b32 s0, exec_lo, s2
	s_cbranch_execz .LBB18_740
; %bb.737:
	v_mov_b32_e32 v9, 1
	s_xor_b32 s3, vcc_lo, -1
	s_and_saveexec_b32 s2, s3
; %bb.738:
	v_and_b32_e32 v9, 0xff, v10
	v_mov_b32_e32 v2, v4
	v_mov_b32_e32 v1, v3
; %bb.739:
	s_or_b32 exec_lo, exec_lo, s2
                                        ; implicit-def: $vgpr3
.LBB18_740:
	s_andn2_saveexec_b32 s0, s0
; %bb.741:
	v_cmp_lt_f32_e32 vcc_lo, v3, v1
	v_mov_b32_e32 v9, 1
	v_cndmask_b32_e32 v1, v1, v3, vcc_lo
	v_cmp_lt_f32_e32 vcc_lo, v2, v4
	v_cndmask_b32_e32 v2, v2, v4, vcc_lo
; %bb.742:
	s_or_b32 exec_lo, exec_lo, s0
.LBB18_743:
	s_or_b32 exec_lo, exec_lo, s1
	s_waitcnt vmcnt(0)
	v_mbcnt_lo_u32_b32 v3, -1, 0
	s_min_u32 s0, s8, 0x100
	s_mov_b32 s1, exec_lo
	v_cmp_ne_u32_e32 vcc_lo, 31, v3
	v_add_nc_u32_e32 v8, 1, v3
	v_add_co_ci_u32_e64 v4, null, 0, v3, vcc_lo
	v_lshlrev_b32_e32 v4, 2, v4
	ds_bpermute_b32 v7, v4, v9
	ds_bpermute_b32 v5, v4, v1
	;; [unrolled: 1-line block ×3, first 2 shown]
	v_and_b32_e32 v4, 0xe0, v0
	v_sub_nc_u32_e64 v4, s0, v4 clamp
	v_cmpx_lt_u32_e64 v8, v4
	s_xor_b32 s1, exec_lo, s1
	s_cbranch_execz .LBB18_751
; %bb.744:
	s_waitcnt lgkmcnt(2)
	v_and_b32_e32 v8, v7, v9
	s_mov_b32 s2, exec_lo
	v_cmpx_ne_u32_e32 0, v8
	s_xor_b32 s2, exec_lo, s2
	s_cbranch_execz .LBB18_746
; %bb.745:
	s_waitcnt lgkmcnt(1)
	v_cmp_gt_f32_e32 vcc_lo, v1, v5
                                        ; implicit-def: $vgpr7
                                        ; implicit-def: $vgpr9
	v_cndmask_b32_e32 v5, v1, v5, vcc_lo
	s_waitcnt lgkmcnt(0)
	v_cmp_lt_f32_e32 vcc_lo, v2, v6
	v_cndmask_b32_e32 v6, v2, v6, vcc_lo
                                        ; implicit-def: $vgpr2
.LBB18_746:
	s_or_saveexec_b32 s2, s2
	v_mov_b32_e32 v8, 1
	s_xor_b32 exec_lo, exec_lo, s2
	s_cbranch_execz .LBB18_750
; %bb.747:
	v_and_b32_e32 v8, 1, v9
	s_mov_b32 s3, exec_lo
	v_cmpx_eq_u32_e32 1, v8
	s_cbranch_execz .LBB18_749
; %bb.748:
	v_mov_b32_e32 v7, 1
	s_waitcnt lgkmcnt(0)
	v_mov_b32_e32 v6, v2
	v_mov_b32_e32 v5, v1
.LBB18_749:
	s_or_b32 exec_lo, exec_lo, s3
	v_mov_b32_e32 v8, v7
.LBB18_750:
	s_or_b32 exec_lo, exec_lo, s2
	v_and_b32_e32 v9, 0xff, v8
	s_waitcnt lgkmcnt(1)
	v_mov_b32_e32 v1, v5
	s_waitcnt lgkmcnt(0)
	v_mov_b32_e32 v2, v6
.LBB18_751:
	s_or_b32 exec_lo, exec_lo, s1
	v_cmp_gt_u32_e32 vcc_lo, 30, v3
	v_add_nc_u32_e32 v8, 2, v3
	s_mov_b32 s1, exec_lo
	s_waitcnt lgkmcnt(1)
	v_cndmask_b32_e64 v5, 0, 2, vcc_lo
	v_add_lshl_u32 v5, v5, v3, 2
	ds_bpermute_b32 v7, v5, v9
	s_waitcnt lgkmcnt(1)
	ds_bpermute_b32 v6, v5, v1
	ds_bpermute_b32 v5, v5, v2
	v_cmpx_lt_u32_e64 v8, v4
	s_cbranch_execz .LBB18_759
; %bb.752:
	s_waitcnt lgkmcnt(2)
	v_and_b32_e32 v8, v9, v7
	s_mov_b32 s2, exec_lo
	v_and_b32_e32 v8, 1, v8
	v_cmpx_eq_u32_e32 1, v8
	s_xor_b32 s2, exec_lo, s2
	s_cbranch_execz .LBB18_754
; %bb.753:
	s_waitcnt lgkmcnt(1)
	v_cmp_gt_f32_e32 vcc_lo, v1, v6
                                        ; implicit-def: $vgpr7
                                        ; implicit-def: $vgpr9
	v_cndmask_b32_e32 v6, v1, v6, vcc_lo
	s_waitcnt lgkmcnt(0)
	v_cmp_lt_f32_e32 vcc_lo, v2, v5
	v_cndmask_b32_e32 v5, v2, v5, vcc_lo
                                        ; implicit-def: $vgpr2
.LBB18_754:
	s_or_saveexec_b32 s2, s2
	v_mov_b32_e32 v8, 1
	s_xor_b32 exec_lo, exec_lo, s2
	s_cbranch_execz .LBB18_758
; %bb.755:
	v_and_b32_e32 v8, 1, v9
	s_mov_b32 s3, exec_lo
	v_cmpx_eq_u32_e32 1, v8
	s_cbranch_execz .LBB18_757
; %bb.756:
	v_mov_b32_e32 v7, 1
	s_waitcnt lgkmcnt(0)
	v_mov_b32_e32 v5, v2
	v_mov_b32_e32 v6, v1
.LBB18_757:
	s_or_b32 exec_lo, exec_lo, s3
	v_mov_b32_e32 v8, v7
.LBB18_758:
	s_or_b32 exec_lo, exec_lo, s2
	v_and_b32_e32 v9, 0xff, v8
	s_waitcnt lgkmcnt(1)
	v_mov_b32_e32 v1, v6
	s_waitcnt lgkmcnt(0)
	v_mov_b32_e32 v2, v5
.LBB18_759:
	s_or_b32 exec_lo, exec_lo, s1
	v_cmp_gt_u32_e32 vcc_lo, 28, v3
	v_add_nc_u32_e32 v8, 4, v3
	s_mov_b32 s1, exec_lo
	s_waitcnt lgkmcnt(0)
	v_cndmask_b32_e64 v5, 0, 4, vcc_lo
	v_add_lshl_u32 v5, v5, v3, 2
	ds_bpermute_b32 v7, v5, v9
	ds_bpermute_b32 v6, v5, v1
	;; [unrolled: 1-line block ×3, first 2 shown]
	v_cmpx_lt_u32_e64 v8, v4
	s_cbranch_execz .LBB18_767
; %bb.760:
	s_waitcnt lgkmcnt(2)
	v_and_b32_e32 v8, v9, v7
	s_mov_b32 s2, exec_lo
	v_and_b32_e32 v8, 1, v8
	v_cmpx_eq_u32_e32 1, v8
	s_xor_b32 s2, exec_lo, s2
	s_cbranch_execz .LBB18_762
; %bb.761:
	s_waitcnt lgkmcnt(1)
	v_cmp_gt_f32_e32 vcc_lo, v1, v6
                                        ; implicit-def: $vgpr7
                                        ; implicit-def: $vgpr9
	v_cndmask_b32_e32 v6, v1, v6, vcc_lo
	s_waitcnt lgkmcnt(0)
	v_cmp_lt_f32_e32 vcc_lo, v2, v5
	v_cndmask_b32_e32 v5, v2, v5, vcc_lo
                                        ; implicit-def: $vgpr2
.LBB18_762:
	s_or_saveexec_b32 s2, s2
	v_mov_b32_e32 v8, 1
	s_xor_b32 exec_lo, exec_lo, s2
	s_cbranch_execz .LBB18_766
; %bb.763:
	v_and_b32_e32 v8, 1, v9
	s_mov_b32 s3, exec_lo
	v_cmpx_eq_u32_e32 1, v8
	s_cbranch_execz .LBB18_765
; %bb.764:
	v_mov_b32_e32 v7, 1
	s_waitcnt lgkmcnt(0)
	v_mov_b32_e32 v5, v2
	v_mov_b32_e32 v6, v1
.LBB18_765:
	s_or_b32 exec_lo, exec_lo, s3
	v_mov_b32_e32 v8, v7
.LBB18_766:
	s_or_b32 exec_lo, exec_lo, s2
	v_and_b32_e32 v9, 0xff, v8
	s_waitcnt lgkmcnt(1)
	v_mov_b32_e32 v1, v6
	s_waitcnt lgkmcnt(0)
	v_mov_b32_e32 v2, v5
.LBB18_767:
	s_or_b32 exec_lo, exec_lo, s1
	v_cmp_gt_u32_e32 vcc_lo, 24, v3
	v_add_nc_u32_e32 v8, 8, v3
	s_mov_b32 s1, exec_lo
	s_waitcnt lgkmcnt(0)
	v_cndmask_b32_e64 v5, 0, 8, vcc_lo
	v_add_lshl_u32 v5, v5, v3, 2
	ds_bpermute_b32 v7, v5, v9
	ds_bpermute_b32 v6, v5, v1
	;; [unrolled: 1-line block ×3, first 2 shown]
	v_cmpx_lt_u32_e64 v8, v4
	s_cbranch_execz .LBB18_775
; %bb.768:
	s_waitcnt lgkmcnt(2)
	v_and_b32_e32 v8, v9, v7
	s_mov_b32 s2, exec_lo
	v_and_b32_e32 v8, 1, v8
	v_cmpx_eq_u32_e32 1, v8
	s_xor_b32 s2, exec_lo, s2
	s_cbranch_execz .LBB18_770
; %bb.769:
	s_waitcnt lgkmcnt(1)
	v_cmp_gt_f32_e32 vcc_lo, v1, v6
                                        ; implicit-def: $vgpr7
                                        ; implicit-def: $vgpr9
	v_cndmask_b32_e32 v6, v1, v6, vcc_lo
	s_waitcnt lgkmcnt(0)
	v_cmp_lt_f32_e32 vcc_lo, v2, v5
	v_cndmask_b32_e32 v5, v2, v5, vcc_lo
                                        ; implicit-def: $vgpr2
.LBB18_770:
	s_or_saveexec_b32 s2, s2
	v_mov_b32_e32 v8, 1
	s_xor_b32 exec_lo, exec_lo, s2
	s_cbranch_execz .LBB18_774
; %bb.771:
	v_and_b32_e32 v8, 1, v9
	s_mov_b32 s3, exec_lo
	v_cmpx_eq_u32_e32 1, v8
	s_cbranch_execz .LBB18_773
; %bb.772:
	v_mov_b32_e32 v7, 1
	s_waitcnt lgkmcnt(0)
	v_mov_b32_e32 v5, v2
	v_mov_b32_e32 v6, v1
.LBB18_773:
	s_or_b32 exec_lo, exec_lo, s3
	v_mov_b32_e32 v8, v7
.LBB18_774:
	s_or_b32 exec_lo, exec_lo, s2
	v_and_b32_e32 v9, 0xff, v8
	s_waitcnt lgkmcnt(1)
	v_mov_b32_e32 v1, v6
	s_waitcnt lgkmcnt(0)
	v_mov_b32_e32 v2, v5
.LBB18_775:
	s_or_b32 exec_lo, exec_lo, s1
	s_waitcnt lgkmcnt(0)
	v_lshlrev_b32_e32 v5, 2, v3
	v_add_nc_u32_e32 v10, 16, v3
	v_or_b32_e32 v7, 64, v5
	v_cmp_lt_u32_e32 vcc_lo, v10, v4
	v_mov_b32_e32 v4, v9
	ds_bpermute_b32 v8, v7, v9
	ds_bpermute_b32 v6, v7, v1
	;; [unrolled: 1-line block ×3, first 2 shown]
	s_and_saveexec_b32 s1, vcc_lo
	s_cbranch_execz .LBB18_783
; %bb.776:
	s_waitcnt lgkmcnt(2)
	v_and_b32_e32 v4, v9, v8
	s_mov_b32 s2, exec_lo
	v_and_b32_e32 v4, 1, v4
	v_cmpx_eq_u32_e32 1, v4
	s_xor_b32 s2, exec_lo, s2
	s_cbranch_execz .LBB18_778
; %bb.777:
	s_waitcnt lgkmcnt(1)
	v_cmp_gt_f32_e32 vcc_lo, v1, v6
                                        ; implicit-def: $vgpr8
                                        ; implicit-def: $vgpr9
	v_cndmask_b32_e32 v6, v1, v6, vcc_lo
	s_waitcnt lgkmcnt(0)
	v_cmp_lt_f32_e32 vcc_lo, v2, v7
	v_cndmask_b32_e32 v7, v2, v7, vcc_lo
                                        ; implicit-def: $vgpr2
.LBB18_778:
	s_or_saveexec_b32 s2, s2
	v_mov_b32_e32 v4, 1
	s_xor_b32 exec_lo, exec_lo, s2
	s_cbranch_execz .LBB18_782
; %bb.779:
	v_and_b32_e32 v4, 1, v9
	s_mov_b32 s3, exec_lo
	v_cmpx_eq_u32_e32 1, v4
	s_cbranch_execz .LBB18_781
; %bb.780:
	v_mov_b32_e32 v8, 1
	s_waitcnt lgkmcnt(0)
	v_mov_b32_e32 v7, v2
	v_mov_b32_e32 v6, v1
.LBB18_781:
	s_or_b32 exec_lo, exec_lo, s3
	v_mov_b32_e32 v4, v8
.LBB18_782:
	s_or_b32 exec_lo, exec_lo, s2
	v_and_b32_e32 v9, 0xff, v4
	s_waitcnt lgkmcnt(0)
	v_mov_b32_e32 v2, v7
	v_mov_b32_e32 v1, v6
.LBB18_783:
	s_or_b32 exec_lo, exec_lo, s1
	s_mov_b32 s1, exec_lo
	v_cmpx_eq_u32_e32 0, v3
	s_cbranch_execz .LBB18_785
; %bb.784:
	s_waitcnt lgkmcnt(1)
	v_lshrrev_b32_e32 v6, 5, v0
	v_mul_u32_u24_e32 v6, 12, v6
	ds_write_b8 v6, v4
	ds_write2_b32 v6, v1, v2 offset0:1 offset1:2
.LBB18_785:
	s_or_b32 exec_lo, exec_lo, s1
	s_mov_b32 s1, exec_lo
	s_waitcnt lgkmcnt(0)
	s_barrier
	buffer_gl0_inv
	v_cmpx_gt_u32_e32 8, v0
	s_cbranch_execz .LBB18_811
; %bb.786:
	v_mul_u32_u24_e32 v1, 12, v3
	v_and_b32_e32 v4, 7, v3
	s_add_i32 s0, s0, 31
	ds_read_u8 v10, v1
	ds_read2_b32 v[1:2], v1 offset0:1 offset1:2
	v_cmp_ne_u32_e32 vcc_lo, 7, v4
	v_add_nc_u32_e32 v11, 1, v4
	s_lshr_b32 s0, s0, 5
	v_add_co_ci_u32_e64 v6, null, 0, v3, vcc_lo
	v_cmp_gt_u32_e32 vcc_lo, s0, v11
	v_lshlrev_b32_e32 v7, 2, v6
	s_waitcnt lgkmcnt(1)
	v_and_b32_e32 v9, 0xff, v10
	s_waitcnt lgkmcnt(0)
	ds_bpermute_b32 v6, v7, v1
	v_mov_b32_e32 v11, v1
	v_mov_b32_e32 v12, v2
	ds_bpermute_b32 v8, v7, v9
	ds_bpermute_b32 v7, v7, v2
	s_and_saveexec_b32 s2, vcc_lo
	s_cbranch_execz .LBB18_794
; %bb.787:
	s_waitcnt lgkmcnt(1)
	v_and_b32_e32 v9, v9, v8
	s_mov_b32 s3, exec_lo
	v_and_b32_e32 v9, 1, v9
	v_cmpx_eq_u32_e32 1, v9
	s_xor_b32 s3, exec_lo, s3
	s_cbranch_execz .LBB18_789
; %bb.788:
	v_cmp_gt_f32_e32 vcc_lo, v1, v6
                                        ; implicit-def: $vgpr8
                                        ; implicit-def: $vgpr10
	v_cndmask_b32_e32 v6, v1, v6, vcc_lo
	s_waitcnt lgkmcnt(0)
	v_cmp_lt_f32_e32 vcc_lo, v2, v7
	v_cndmask_b32_e32 v7, v2, v7, vcc_lo
                                        ; implicit-def: $vgpr2
.LBB18_789:
	s_or_saveexec_b32 s3, s3
	v_mov_b32_e32 v9, 1
	s_xor_b32 exec_lo, exec_lo, s3
	s_cbranch_execz .LBB18_793
; %bb.790:
	v_and_b32_e32 v9, 1, v10
	s_mov_b32 s8, exec_lo
	v_cmpx_eq_u32_e32 1, v9
	s_cbranch_execz .LBB18_792
; %bb.791:
	v_mov_b32_e32 v8, 1
	s_waitcnt lgkmcnt(0)
	v_mov_b32_e32 v7, v2
	v_mov_b32_e32 v6, v1
.LBB18_792:
	s_or_b32 exec_lo, exec_lo, s8
	v_mov_b32_e32 v9, v8
.LBB18_793:
	s_or_b32 exec_lo, exec_lo, s3
	v_and_b32_e32 v9, 0xff, v9
	v_mov_b32_e32 v11, v6
	s_waitcnt lgkmcnt(0)
	v_mov_b32_e32 v12, v7
	v_mov_b32_e32 v2, v7
	v_mov_b32_e32 v1, v6
.LBB18_794:
	s_or_b32 exec_lo, exec_lo, s2
	v_cmp_gt_u32_e32 vcc_lo, 6, v4
	s_waitcnt lgkmcnt(1)
	v_add_nc_u32_e32 v8, 2, v4
	s_mov_b32 s2, exec_lo
	v_cndmask_b32_e64 v6, 0, 2, vcc_lo
	v_add_lshl_u32 v6, v6, v3, 2
	s_waitcnt lgkmcnt(0)
	ds_bpermute_b32 v7, v6, v9
	ds_bpermute_b32 v3, v6, v11
	;; [unrolled: 1-line block ×3, first 2 shown]
	v_cmpx_gt_u32_e64 s0, v8
	s_cbranch_execz .LBB18_802
; %bb.795:
	s_waitcnt lgkmcnt(2)
	v_and_b32_e32 v8, v9, v7
	s_mov_b32 s3, exec_lo
	v_and_b32_e32 v8, 1, v8
	v_cmpx_eq_u32_e32 1, v8
	s_xor_b32 s3, exec_lo, s3
	s_cbranch_execz .LBB18_797
; %bb.796:
	s_waitcnt lgkmcnt(1)
	v_cmp_gt_f32_e32 vcc_lo, v1, v3
                                        ; implicit-def: $vgpr7
                                        ; implicit-def: $vgpr9
	v_cndmask_b32_e32 v3, v1, v3, vcc_lo
	s_waitcnt lgkmcnt(0)
	v_cmp_lt_f32_e32 vcc_lo, v2, v6
	v_cndmask_b32_e32 v6, v2, v6, vcc_lo
                                        ; implicit-def: $vgpr2
.LBB18_797:
	s_or_saveexec_b32 s3, s3
	v_mov_b32_e32 v8, 1
	s_xor_b32 exec_lo, exec_lo, s3
	s_cbranch_execz .LBB18_801
; %bb.798:
	v_and_b32_e32 v8, 1, v9
	s_mov_b32 s8, exec_lo
	v_cmpx_eq_u32_e32 1, v8
	s_cbranch_execz .LBB18_800
; %bb.799:
	v_mov_b32_e32 v7, 1
	s_waitcnt lgkmcnt(0)
	v_mov_b32_e32 v6, v2
	v_mov_b32_e32 v3, v1
.LBB18_800:
	s_or_b32 exec_lo, exec_lo, s8
	v_mov_b32_e32 v8, v7
.LBB18_801:
	s_or_b32 exec_lo, exec_lo, s3
	v_and_b32_e32 v9, 0xff, v8
	s_waitcnt lgkmcnt(1)
	v_mov_b32_e32 v11, v3
	s_waitcnt lgkmcnt(0)
	v_mov_b32_e32 v12, v6
	v_mov_b32_e32 v2, v6
	;; [unrolled: 1-line block ×3, first 2 shown]
.LBB18_802:
	s_or_b32 exec_lo, exec_lo, s2
	v_or_b32_e32 v5, 16, v5
	v_add_nc_u32_e32 v4, 4, v4
	s_waitcnt lgkmcnt(0)
	ds_bpermute_b32 v6, v5, v9
	ds_bpermute_b32 v3, v5, v11
	;; [unrolled: 1-line block ×3, first 2 shown]
	v_cmp_gt_u32_e32 vcc_lo, s0, v4
	s_and_saveexec_b32 s0, vcc_lo
	s_cbranch_execz .LBB18_810
; %bb.803:
	s_waitcnt lgkmcnt(2)
	v_and_b32_e32 v4, v9, v6
	s_mov_b32 s2, exec_lo
	v_and_b32_e32 v4, 1, v4
	v_cmpx_eq_u32_e32 1, v4
	s_xor_b32 s2, exec_lo, s2
	s_cbranch_execz .LBB18_805
; %bb.804:
	s_waitcnt lgkmcnt(1)
	v_cmp_gt_f32_e32 vcc_lo, v1, v3
                                        ; implicit-def: $vgpr6
                                        ; implicit-def: $vgpr9
	v_cndmask_b32_e32 v3, v1, v3, vcc_lo
	s_waitcnt lgkmcnt(0)
	v_cmp_lt_f32_e32 vcc_lo, v2, v5
	v_cndmask_b32_e32 v5, v2, v5, vcc_lo
                                        ; implicit-def: $vgpr2
.LBB18_805:
	s_or_saveexec_b32 s2, s2
	v_mov_b32_e32 v4, 1
	s_xor_b32 exec_lo, exec_lo, s2
	s_cbranch_execz .LBB18_809
; %bb.806:
	v_and_b32_e32 v4, 1, v9
	s_mov_b32 s3, exec_lo
	v_cmpx_eq_u32_e32 1, v4
	s_cbranch_execz .LBB18_808
; %bb.807:
	v_mov_b32_e32 v6, 1
	s_waitcnt lgkmcnt(0)
	v_mov_b32_e32 v5, v2
	v_mov_b32_e32 v3, v1
.LBB18_808:
	s_or_b32 exec_lo, exec_lo, s3
	v_mov_b32_e32 v4, v6
.LBB18_809:
	s_or_b32 exec_lo, exec_lo, s2
	s_waitcnt lgkmcnt(0)
	v_mov_b32_e32 v2, v5
	v_mov_b32_e32 v1, v3
	v_mov_b32_e32 v9, v4
.LBB18_810:
	s_or_b32 exec_lo, exec_lo, s0
.LBB18_811:
	s_or_b32 exec_lo, exec_lo, s1
.LBB18_812:
	s_mov_b32 s0, exec_lo
                                        ; implicit-def: $vgpr4
                                        ; implicit-def: $vgpr6
	v_cmpx_eq_u32_e32 0, v0
	s_xor_b32 s0, exec_lo, s0
	s_cbranch_execz .LBB18_820
; %bb.813:
	v_mov_b32_e32 v4, s25
	s_waitcnt lgkmcnt(1)
	v_mov_b32_e32 v3, s24
	v_mov_b32_e32 v6, s26
	s_cmp_eq_u64 s[22:23], 0
	s_cbranch_scc1 .LBB18_819
; %bb.814:
	v_and_b32_e32 v3, 1, v9
	s_bitcmp1_b32 s26, 0
                                        ; implicit-def: $vgpr6
	s_cselect_b32 s1, -1, 0
	v_cmp_eq_u32_e32 vcc_lo, 1, v3
                                        ; implicit-def: $vgpr4
	s_and_b32 s2, s1, vcc_lo
	s_xor_b32 s2, s2, -1
	s_and_saveexec_b32 s3, s2
	s_xor_b32 s2, exec_lo, s3
	s_cbranch_execz .LBB18_816
; %bb.815:
	v_cndmask_b32_e64 v6, v9, 1, s1
	v_cndmask_b32_e64 v3, v1, s24, s1
	s_waitcnt lgkmcnt(0)
	v_cndmask_b32_e64 v4, v2, s25, s1
                                        ; implicit-def: $vgpr1
.LBB18_816:
	s_andn2_saveexec_b32 s1, s2
	s_cbranch_execz .LBB18_818
; %bb.817:
	v_cmp_gt_f32_e32 vcc_lo, s24, v1
	v_mov_b32_e32 v6, 1
	v_cndmask_b32_e32 v3, s24, v1, vcc_lo
	s_waitcnt lgkmcnt(0)
	v_cmp_lt_f32_e32 vcc_lo, s25, v2
	v_cndmask_b32_e32 v4, s25, v2, vcc_lo
.LBB18_818:
	s_or_b32 exec_lo, exec_lo, s1
.LBB18_819:
	s_or_b32 s12, s12, exec_lo
.LBB18_820:
	s_or_b32 exec_lo, exec_lo, s0
	s_branch .LBB18_1032
.LBB18_821:
	s_cmp_gt_i32 s27, 1
	s_cbranch_scc0 .LBB18_883
; %bb.822:
	s_cmp_eq_u32 s27, 2
	s_cbranch_scc0 .LBB18_884
; %bb.823:
	s_lshl_b32 s1, s6, 9
	s_mul_i32 s0, s6, 0x1800
	s_lshr_b64 s[8:9], s[22:23], 9
	s_mul_hi_u32 s3, s1, 12
	s_mov_b32 s7, 0
	s_add_u32 s2, s20, s0
	s_addc_u32 s3, s21, s3
	s_cmp_lg_u64 s[8:9], s[6:7]
	s_cbranch_scc0 .LBB18_885
; %bb.824:
	s_waitcnt lgkmcnt(0)
	v_mad_u64_u32 v[1:2], null, v0, 12, s[2:3]
	s_mov_b32 s0, exec_lo
	v_add_co_u32 v3, vcc_lo, 0x800, v1
	v_add_co_ci_u32_e64 v4, null, 0, v2, vcc_lo
	s_clause 0x3
	global_load_ubyte v6, v[1:2], off
	global_load_ubyte v5, v[3:4], off offset:1024
	global_load_dwordx2 v[1:2], v[1:2], off offset:4
	global_load_dwordx2 v[3:4], v[3:4], off offset:1028
	s_waitcnt vmcnt(2)
	v_and_b32_e32 v7, v5, v6
	v_and_b32_e32 v7, 1, v7
	v_cmpx_eq_u32_e32 1, v7
	s_xor_b32 s0, exec_lo, s0
	s_cbranch_execz .LBB18_826
; %bb.825:
	s_waitcnt vmcnt(0)
	v_cmp_lt_f32_e32 vcc_lo, v3, v1
                                        ; implicit-def: $vgpr5
                                        ; implicit-def: $vgpr6
	v_cndmask_b32_e32 v1, v1, v3, vcc_lo
	v_cmp_lt_f32_e32 vcc_lo, v2, v4
	v_cndmask_b32_e32 v2, v2, v4, vcc_lo
                                        ; implicit-def: $vgpr4
.LBB18_826:
	s_or_saveexec_b32 s0, s0
	v_mov_b32_e32 v7, 1
	s_xor_b32 exec_lo, exec_lo, s0
	s_cbranch_execz .LBB18_830
; %bb.827:
	v_and_b32_e32 v6, 1, v6
	v_mov_b32_e32 v7, 1
	v_cmp_eq_u32_e32 vcc_lo, 1, v6
	s_xor_b32 s9, vcc_lo, -1
	s_and_saveexec_b32 s8, s9
	s_cbranch_execz .LBB18_829
; %bb.828:
	s_waitcnt vmcnt(0)
	v_mov_b32_e32 v2, v4
	v_mov_b32_e32 v1, v3
	;; [unrolled: 1-line block ×3, first 2 shown]
.LBB18_829:
	s_or_b32 exec_lo, exec_lo, s8
.LBB18_830:
	s_or_b32 exec_lo, exec_lo, s0
	v_and_b32_e32 v5, 0xff, v7
	s_waitcnt vmcnt(0)
	v_and_b32_e32 v4, 1, v7
                                        ; implicit-def: $vgpr6
	v_mov_b32_dpp v3, v5 quad_perm:[1,0,3,2] row_mask:0xf bank_mask:0xf
	v_cmp_eq_u32_e64 s0, 1, v4
	v_mov_b32_dpp v4, v2 quad_perm:[1,0,3,2] row_mask:0xf bank_mask:0xf
	v_and_b32_e32 v3, 1, v3
	v_cmp_eq_u32_e32 vcc_lo, 1, v3
	v_mov_b32_dpp v3, v1 quad_perm:[1,0,3,2] row_mask:0xf bank_mask:0xf
	s_and_b32 s0, vcc_lo, s0
	s_xor_b32 s0, s0, -1
	s_and_saveexec_b32 s8, s0
	s_xor_b32 s0, exec_lo, s8
	s_cbranch_execz .LBB18_834
; %bb.831:
	v_mov_b32_e32 v6, 1
	s_xor_b32 s9, vcc_lo, -1
	s_and_saveexec_b32 s8, s9
; %bb.832:
	v_mov_b32_e32 v4, v2
	v_mov_b32_e32 v3, v1
	;; [unrolled: 1-line block ×3, first 2 shown]
; %bb.833:
	s_or_b32 exec_lo, exec_lo, s8
                                        ; implicit-def: $vgpr1
.LBB18_834:
	s_andn2_saveexec_b32 s0, s0
; %bb.835:
	v_cmp_lt_f32_e32 vcc_lo, v1, v3
	v_mov_b32_e32 v6, 1
	v_cndmask_b32_e32 v3, v3, v1, vcc_lo
	v_cmp_gt_f32_e32 vcc_lo, v2, v4
	v_cndmask_b32_e32 v4, v4, v2, vcc_lo
; %bb.836:
	s_or_b32 exec_lo, exec_lo, s0
	v_mov_b32_dpp v1, v6 quad_perm:[2,3,0,1] row_mask:0xf bank_mask:0xf
	v_mov_b32_dpp v5, v4 quad_perm:[2,3,0,1] row_mask:0xf bank_mask:0xf
	v_and_b32_e32 v2, v1, v6
	v_and_b32_e32 v7, 1, v1
	v_mov_b32_dpp v1, v3 quad_perm:[2,3,0,1] row_mask:0xf bank_mask:0xf
	v_and_b32_e32 v2, 1, v2
	v_cmp_ne_u32_e32 vcc_lo, 1, v7
                                        ; implicit-def: $vgpr7
	v_cmp_ne_u32_e64 s0, 1, v2
	s_and_saveexec_b32 s8, s0
	s_xor_b32 s0, exec_lo, s8
	s_cbranch_execz .LBB18_840
; %bb.837:
	v_mov_b32_e32 v7, 1
	s_and_saveexec_b32 s8, vcc_lo
; %bb.838:
	v_mov_b32_e32 v5, v4
	v_mov_b32_e32 v1, v3
	;; [unrolled: 1-line block ×3, first 2 shown]
; %bb.839:
	s_or_b32 exec_lo, exec_lo, s8
                                        ; implicit-def: $vgpr3
                                        ; implicit-def: $vgpr4
.LBB18_840:
	s_andn2_saveexec_b32 s0, s0
; %bb.841:
	v_cmp_lt_f32_e32 vcc_lo, v3, v1
	v_mov_b32_e32 v7, 1
	v_cndmask_b32_e32 v1, v1, v3, vcc_lo
	v_cmp_gt_f32_e32 vcc_lo, v4, v5
	v_cndmask_b32_e32 v5, v5, v4, vcc_lo
; %bb.842:
	s_or_b32 exec_lo, exec_lo, s0
	v_mov_b32_dpp v2, v7 row_ror:4 row_mask:0xf bank_mask:0xf
	v_and_b32_e32 v3, v2, v7
	v_and_b32_e32 v4, 1, v2
	v_mov_b32_dpp v2, v1 row_ror:4 row_mask:0xf bank_mask:0xf
	v_and_b32_e32 v6, 1, v3
	v_mov_b32_dpp v3, v5 row_ror:4 row_mask:0xf bank_mask:0xf
	v_cmp_ne_u32_e32 vcc_lo, 1, v4
	v_cmp_ne_u32_e64 s0, 1, v6
                                        ; implicit-def: $vgpr6
	s_and_saveexec_b32 s8, s0
	s_xor_b32 s0, exec_lo, s8
	s_cbranch_execz .LBB18_846
; %bb.843:
	v_mov_b32_e32 v6, 1
	s_and_saveexec_b32 s8, vcc_lo
; %bb.844:
	v_mov_b32_e32 v3, v5
	v_mov_b32_e32 v2, v1
	;; [unrolled: 1-line block ×3, first 2 shown]
; %bb.845:
	s_or_b32 exec_lo, exec_lo, s8
                                        ; implicit-def: $vgpr1
                                        ; implicit-def: $vgpr5
.LBB18_846:
	s_andn2_saveexec_b32 s0, s0
; %bb.847:
	v_cmp_lt_f32_e32 vcc_lo, v1, v2
	v_mov_b32_e32 v6, 1
	v_cndmask_b32_e32 v2, v2, v1, vcc_lo
	v_cmp_gt_f32_e32 vcc_lo, v5, v3
	v_cndmask_b32_e32 v3, v3, v5, vcc_lo
; %bb.848:
	s_or_b32 exec_lo, exec_lo, s0
	v_mov_b32_dpp v1, v6 row_ror:8 row_mask:0xf bank_mask:0xf
	v_and_b32_e32 v4, v1, v6
	v_and_b32_e32 v5, 1, v1
	v_mov_b32_dpp v1, v2 row_ror:8 row_mask:0xf bank_mask:0xf
	v_and_b32_e32 v7, 1, v4
	v_mov_b32_dpp v4, v3 row_ror:8 row_mask:0xf bank_mask:0xf
	v_cmp_ne_u32_e32 vcc_lo, 1, v5
                                        ; implicit-def: $vgpr5
	v_cmp_ne_u32_e64 s0, 1, v7
	s_and_saveexec_b32 s8, s0
	s_xor_b32 s0, exec_lo, s8
	s_cbranch_execz .LBB18_852
; %bb.849:
	v_mov_b32_e32 v5, 1
	s_and_saveexec_b32 s8, vcc_lo
; %bb.850:
	v_mov_b32_e32 v4, v3
	v_mov_b32_e32 v1, v2
	v_mov_b32_e32 v5, v6
; %bb.851:
	s_or_b32 exec_lo, exec_lo, s8
                                        ; implicit-def: $vgpr2
                                        ; implicit-def: $vgpr3
.LBB18_852:
	s_andn2_saveexec_b32 s0, s0
; %bb.853:
	v_cmp_lt_f32_e32 vcc_lo, v2, v1
	v_mov_b32_e32 v5, 1
	v_cndmask_b32_e32 v1, v1, v2, vcc_lo
	v_cmp_gt_f32_e32 vcc_lo, v3, v4
	v_cndmask_b32_e32 v4, v4, v3, vcc_lo
; %bb.854:
	s_or_b32 exec_lo, exec_lo, s0
	ds_swizzle_b32 v6, v5 offset:swizzle(BROADCAST,32,15)
	ds_swizzle_b32 v3, v1 offset:swizzle(BROADCAST,32,15)
	ds_swizzle_b32 v2, v4 offset:swizzle(BROADCAST,32,15)
	s_waitcnt lgkmcnt(2)
	v_and_b32_e32 v7, v6, v5
	v_and_b32_e32 v6, 1, v6
	;; [unrolled: 1-line block ×3, first 2 shown]
	v_cmp_ne_u32_e32 vcc_lo, 1, v6
                                        ; implicit-def: $vgpr6
	v_cmp_ne_u32_e64 s0, 1, v7
	s_and_saveexec_b32 s8, s0
	s_xor_b32 s0, exec_lo, s8
	s_cbranch_execz .LBB18_858
; %bb.855:
	v_mov_b32_e32 v6, 1
	s_and_saveexec_b32 s8, vcc_lo
	s_cbranch_execz .LBB18_857
; %bb.856:
	s_waitcnt lgkmcnt(0)
	v_mov_b32_e32 v2, v4
	v_mov_b32_e32 v3, v1
	;; [unrolled: 1-line block ×3, first 2 shown]
.LBB18_857:
	s_or_b32 exec_lo, exec_lo, s8
                                        ; implicit-def: $vgpr1
                                        ; implicit-def: $vgpr4
.LBB18_858:
	s_andn2_saveexec_b32 s0, s0
	s_cbranch_execz .LBB18_860
; %bb.859:
	s_waitcnt lgkmcnt(1)
	v_cmp_lt_f32_e32 vcc_lo, v1, v3
	v_mov_b32_e32 v6, 1
	v_cndmask_b32_e32 v3, v3, v1, vcc_lo
	s_waitcnt lgkmcnt(0)
	v_cmp_gt_f32_e32 vcc_lo, v4, v2
	v_cndmask_b32_e32 v2, v2, v4, vcc_lo
.LBB18_860:
	s_or_b32 exec_lo, exec_lo, s0
	v_mov_b32_e32 v4, 0
	s_mov_b32 s0, exec_lo
	ds_bpermute_b32 v5, v4, v6 offset:124
	s_waitcnt lgkmcnt(2)
	ds_bpermute_b32 v1, v4, v3 offset:124
	s_waitcnt lgkmcnt(2)
	ds_bpermute_b32 v2, v4, v2 offset:124
	v_mbcnt_lo_u32_b32 v3, -1, 0
	v_cmpx_eq_u32_e32 0, v3
	s_cbranch_execz .LBB18_862
; %bb.861:
	v_lshrrev_b32_e32 v4, 5, v0
	v_mul_u32_u24_e32 v4, 12, v4
	s_waitcnt lgkmcnt(2)
	ds_write_b8 v4, v5 offset:288
	s_waitcnt lgkmcnt(1)
	ds_write2_b32 v4, v1, v2 offset0:73 offset1:74
.LBB18_862:
	s_or_b32 exec_lo, exec_lo, s0
	s_mov_b32 s0, exec_lo
	s_waitcnt lgkmcnt(0)
	s_barrier
	buffer_gl0_inv
	v_cmpx_gt_u32_e32 32, v0
	s_cbranch_execz .LBB18_882
; %bb.863:
	v_and_b32_e32 v6, 7, v3
	s_mov_b32 s8, exec_lo
	v_mul_u32_u24_e32 v1, 12, v6
	v_cmp_ne_u32_e32 vcc_lo, 7, v6
	ds_read_u8 v9, v1 offset:288
	v_add_co_ci_u32_e64 v4, null, 0, v3, vcc_lo
	ds_read2_b32 v[1:2], v1 offset0:73 offset1:74
	v_lshlrev_b32_e32 v4, 2, v4
	s_waitcnt lgkmcnt(1)
	v_and_b32_e32 v5, 0xff, v9
	ds_bpermute_b32 v7, v4, v5
	s_waitcnt lgkmcnt(1)
	ds_bpermute_b32 v5, v4, v1
	ds_bpermute_b32 v4, v4, v2
	s_waitcnt lgkmcnt(2)
	v_and_b32_e32 v8, v9, v7
	v_and_b32_e32 v8, 1, v8
	v_cmpx_eq_u32_e32 1, v8
	s_xor_b32 s8, exec_lo, s8
	s_cbranch_execz .LBB18_865
; %bb.864:
	s_waitcnt lgkmcnt(1)
	v_cmp_gt_f32_e32 vcc_lo, v1, v5
                                        ; implicit-def: $vgpr7
                                        ; implicit-def: $vgpr9
	v_cndmask_b32_e32 v5, v1, v5, vcc_lo
	s_waitcnt lgkmcnt(0)
	v_cmp_lt_f32_e32 vcc_lo, v2, v4
	v_cndmask_b32_e32 v4, v2, v4, vcc_lo
                                        ; implicit-def: $vgpr2
.LBB18_865:
	s_or_saveexec_b32 s8, s8
	v_mov_b32_e32 v8, 1
	s_xor_b32 exec_lo, exec_lo, s8
	s_cbranch_execz .LBB18_869
; %bb.866:
	v_and_b32_e32 v8, 1, v9
	s_mov_b32 s9, exec_lo
	v_cmpx_eq_u32_e32 1, v8
	s_cbranch_execz .LBB18_868
; %bb.867:
	v_mov_b32_e32 v7, 1
	s_waitcnt lgkmcnt(0)
	v_mov_b32_e32 v4, v2
	v_mov_b32_e32 v5, v1
.LBB18_868:
	s_or_b32 exec_lo, exec_lo, s9
	v_mov_b32_e32 v8, v7
.LBB18_869:
	s_or_b32 exec_lo, exec_lo, s8
	v_cmp_gt_u32_e32 vcc_lo, 6, v6
	v_and_b32_e32 v2, 0xff, v8
	s_mov_b32 s8, exec_lo
	v_cndmask_b32_e64 v1, 0, 2, vcc_lo
	v_add_lshl_u32 v6, v1, v3, 2
	ds_bpermute_b32 v1, v6, v2
	s_waitcnt lgkmcnt(2)
	ds_bpermute_b32 v7, v6, v5
	s_waitcnt lgkmcnt(2)
	ds_bpermute_b32 v6, v6, v4
	s_waitcnt lgkmcnt(2)
	v_and_b32_e32 v2, v8, v1
	v_and_b32_e32 v2, 1, v2
	v_cmpx_eq_u32_e32 1, v2
	s_xor_b32 s8, exec_lo, s8
	s_cbranch_execz .LBB18_871
; %bb.870:
	s_waitcnt lgkmcnt(1)
	v_cmp_gt_f32_e32 vcc_lo, v5, v7
                                        ; implicit-def: $vgpr1
                                        ; implicit-def: $vgpr8
	v_cndmask_b32_e32 v7, v5, v7, vcc_lo
	s_waitcnt lgkmcnt(0)
	v_cmp_lt_f32_e32 vcc_lo, v4, v6
                                        ; implicit-def: $vgpr5
	v_cndmask_b32_e32 v6, v4, v6, vcc_lo
                                        ; implicit-def: $vgpr4
.LBB18_871:
	s_or_saveexec_b32 s8, s8
	v_lshlrev_b32_e32 v2, 2, v3
	v_mov_b32_e32 v9, 1
	s_xor_b32 exec_lo, exec_lo, s8
	s_cbranch_execz .LBB18_875
; %bb.872:
	v_and_b32_e32 v3, 1, v8
	s_mov_b32 s9, exec_lo
	v_cmpx_eq_u32_e32 1, v3
	s_cbranch_execz .LBB18_874
; %bb.873:
	v_mov_b32_e32 v1, 1
	s_waitcnt lgkmcnt(0)
	v_mov_b32_e32 v6, v4
	v_mov_b32_e32 v7, v5
.LBB18_874:
	s_or_b32 exec_lo, exec_lo, s9
	v_mov_b32_e32 v9, v1
.LBB18_875:
	s_or_b32 exec_lo, exec_lo, s8
	v_and_b32_e32 v1, 0xff, v9
	v_or_b32_e32 v2, 16, v2
	s_mov_b32 s8, exec_lo
	ds_bpermute_b32 v3, v2, v1
	s_waitcnt lgkmcnt(2)
	ds_bpermute_b32 v1, v2, v7
	s_waitcnt lgkmcnt(2)
	;; [unrolled: 2-line block ×3, first 2 shown]
	v_and_b32_e32 v4, v9, v3
	v_and_b32_e32 v4, 1, v4
	v_cmpx_eq_u32_e32 1, v4
	s_xor_b32 s8, exec_lo, s8
	s_cbranch_execz .LBB18_877
; %bb.876:
	s_waitcnt lgkmcnt(1)
	v_cmp_gt_f32_e32 vcc_lo, v7, v1
                                        ; implicit-def: $vgpr3
                                        ; implicit-def: $vgpr9
	v_cndmask_b32_e32 v1, v7, v1, vcc_lo
	s_waitcnt lgkmcnt(0)
	v_cmp_lt_f32_e32 vcc_lo, v6, v2
                                        ; implicit-def: $vgpr7
	v_cndmask_b32_e32 v2, v6, v2, vcc_lo
                                        ; implicit-def: $vgpr6
.LBB18_877:
	s_or_saveexec_b32 s8, s8
	v_mov_b32_e32 v5, 1
	s_xor_b32 exec_lo, exec_lo, s8
	s_cbranch_execz .LBB18_881
; %bb.878:
	v_and_b32_e32 v4, 1, v9
	s_mov_b32 s9, exec_lo
	v_cmpx_eq_u32_e32 1, v4
	s_cbranch_execz .LBB18_880
; %bb.879:
	v_mov_b32_e32 v3, 1
	s_waitcnt lgkmcnt(0)
	v_mov_b32_e32 v2, v6
	v_mov_b32_e32 v1, v7
.LBB18_880:
	s_or_b32 exec_lo, exec_lo, s9
	v_mov_b32_e32 v5, v3
.LBB18_881:
	s_or_b32 exec_lo, exec_lo, s8
.LBB18_882:
	s_or_b32 exec_lo, exec_lo, s0
	s_branch .LBB18_967
.LBB18_883:
                                        ; implicit-def: $vgpr4
                                        ; implicit-def: $vgpr6
	s_cbranch_execnz .LBB18_976
	s_branch .LBB18_1032
.LBB18_884:
                                        ; implicit-def: $vgpr4
                                        ; implicit-def: $vgpr6
	s_branch .LBB18_1032
.LBB18_885:
                                        ; implicit-def: $vgpr2
                                        ; implicit-def: $vgpr5
	s_cbranch_execz .LBB18_967
; %bb.886:
	s_waitcnt lgkmcnt(2)
	v_mov_b32_e32 v6, 0
	s_waitcnt lgkmcnt(1)
	v_mov_b32_e32 v3, 0
	;; [unrolled: 2-line block ×3, first 2 shown]
	v_mov_b32_e32 v1, 0
	s_sub_i32 s0, s22, s1
	s_mov_b32 s1, exec_lo
	v_cmpx_gt_u32_e64 s0, v0
	s_cbranch_execz .LBB18_888
; %bb.887:
	v_mad_u64_u32 v[1:2], null, v0, 12, s[2:3]
	s_clause 0x1
	global_load_ubyte v6, v[1:2], off
	global_load_dwordx2 v[1:2], v[1:2], off offset:4
.LBB18_888:
	s_or_b32 exec_lo, exec_lo, s1
	v_or_b32_e32 v7, 0x100, v0
	v_mov_b32_e32 v5, 0
	v_mov_b32_e32 v4, 0
	v_cmp_gt_u32_e32 vcc_lo, s0, v7
	s_and_saveexec_b32 s1, vcc_lo
	s_cbranch_execz .LBB18_890
; %bb.889:
	v_mad_u64_u32 v[3:4], null, v7, 12, s[2:3]
	s_clause 0x1
	global_load_ubyte v5, v[3:4], off
	global_load_dwordx2 v[3:4], v[3:4], off offset:4
.LBB18_890:
	s_or_b32 exec_lo, exec_lo, s1
	s_and_saveexec_b32 s1, vcc_lo
	s_cbranch_execz .LBB18_898
; %bb.891:
	s_waitcnt vmcnt(1)
	v_and_b32_e32 v7, v5, v6
	v_mov_b32_e32 v8, 0
	v_cmp_ne_u16_sdwa s2, v7, v8 src0_sel:BYTE_0 src1_sel:DWORD
	s_and_saveexec_b32 s3, s2
	s_xor_b32 s2, exec_lo, s3
	s_cbranch_execz .LBB18_893
; %bb.892:
	s_waitcnt vmcnt(0)
	v_cmp_lt_f32_e32 vcc_lo, v3, v1
                                        ; implicit-def: $vgpr5
                                        ; implicit-def: $vgpr6
	v_cndmask_b32_e32 v1, v1, v3, vcc_lo
	v_cmp_lt_f32_e32 vcc_lo, v2, v4
	v_cndmask_b32_e32 v2, v2, v4, vcc_lo
                                        ; implicit-def: $vgpr4
.LBB18_893:
	s_or_saveexec_b32 s2, s2
	v_mov_b32_e32 v7, 1
	s_xor_b32 exec_lo, exec_lo, s2
	s_cbranch_execz .LBB18_897
; %bb.894:
	v_and_b32_e32 v6, 1, v6
	v_mov_b32_e32 v7, 1
	v_cmp_eq_u32_e32 vcc_lo, 1, v6
	s_xor_b32 s8, vcc_lo, -1
	s_and_saveexec_b32 s3, s8
	s_cbranch_execz .LBB18_896
; %bb.895:
	s_waitcnt vmcnt(0)
	v_mov_b32_e32 v2, v4
	v_mov_b32_e32 v1, v3
	;; [unrolled: 1-line block ×3, first 2 shown]
.LBB18_896:
	s_or_b32 exec_lo, exec_lo, s3
.LBB18_897:
	s_or_b32 exec_lo, exec_lo, s2
	v_mov_b32_e32 v6, v7
.LBB18_898:
	s_or_b32 exec_lo, exec_lo, s1
	s_waitcnt vmcnt(0)
	v_mbcnt_lo_u32_b32 v3, -1, 0
	v_and_b32_e32 v5, 0xff, v6
	s_min_u32 s0, s0, 0x100
	s_mov_b32 s1, exec_lo
	v_cmp_ne_u32_e32 vcc_lo, 31, v3
	v_add_nc_u32_e32 v10, 1, v3
	v_add_co_ci_u32_e64 v4, null, 0, v3, vcc_lo
	v_lshlrev_b32_e32 v4, 2, v4
	ds_bpermute_b32 v9, v4, v5
	ds_bpermute_b32 v7, v4, v1
	;; [unrolled: 1-line block ×3, first 2 shown]
	v_and_b32_e32 v4, 0xe0, v0
	v_sub_nc_u32_e64 v4, s0, v4 clamp
	v_cmpx_lt_u32_e64 v10, v4
	s_xor_b32 s1, exec_lo, s1
	s_cbranch_execz .LBB18_906
; %bb.899:
	s_waitcnt lgkmcnt(2)
	v_and_b32_e32 v5, v9, v5
	s_mov_b32 s2, exec_lo
	v_cmpx_ne_u32_e32 0, v5
	s_xor_b32 s2, exec_lo, s2
	s_cbranch_execz .LBB18_901
; %bb.900:
	s_waitcnt lgkmcnt(1)
	v_cmp_gt_f32_e32 vcc_lo, v1, v7
                                        ; implicit-def: $vgpr9
                                        ; implicit-def: $vgpr6
	v_cndmask_b32_e32 v7, v1, v7, vcc_lo
	s_waitcnt lgkmcnt(0)
	v_cmp_lt_f32_e32 vcc_lo, v2, v8
	v_cndmask_b32_e32 v8, v2, v8, vcc_lo
                                        ; implicit-def: $vgpr2
.LBB18_901:
	s_or_saveexec_b32 s2, s2
	v_mov_b32_e32 v5, 1
	s_xor_b32 exec_lo, exec_lo, s2
	s_cbranch_execz .LBB18_905
; %bb.902:
	v_and_b32_e32 v5, 1, v6
	s_mov_b32 s3, exec_lo
	v_cmpx_eq_u32_e32 1, v5
	s_cbranch_execz .LBB18_904
; %bb.903:
	v_mov_b32_e32 v9, 1
	s_waitcnt lgkmcnt(0)
	v_mov_b32_e32 v8, v2
	v_mov_b32_e32 v7, v1
.LBB18_904:
	s_or_b32 exec_lo, exec_lo, s3
	v_mov_b32_e32 v5, v9
.LBB18_905:
	s_or_b32 exec_lo, exec_lo, s2
	v_and_b32_e32 v5, 0xff, v5
	s_waitcnt lgkmcnt(1)
	v_mov_b32_e32 v1, v7
	s_waitcnt lgkmcnt(0)
	v_mov_b32_e32 v2, v8
.LBB18_906:
	s_or_b32 exec_lo, exec_lo, s1
	v_cmp_gt_u32_e32 vcc_lo, 30, v3
	s_waitcnt lgkmcnt(2)
	v_add_nc_u32_e32 v9, 2, v3
	s_mov_b32 s1, exec_lo
	v_cndmask_b32_e64 v6, 0, 2, vcc_lo
	v_add_lshl_u32 v6, v6, v3, 2
	s_waitcnt lgkmcnt(0)
	ds_bpermute_b32 v8, v6, v5
	ds_bpermute_b32 v7, v6, v1
	;; [unrolled: 1-line block ×3, first 2 shown]
	v_cmpx_lt_u32_e64 v9, v4
	s_cbranch_execz .LBB18_914
; %bb.907:
	s_waitcnt lgkmcnt(2)
	v_and_b32_e32 v9, v5, v8
	s_mov_b32 s2, exec_lo
	v_and_b32_e32 v9, 1, v9
	v_cmpx_eq_u32_e32 1, v9
	s_xor_b32 s2, exec_lo, s2
	s_cbranch_execz .LBB18_909
; %bb.908:
	s_waitcnt lgkmcnt(1)
	v_cmp_gt_f32_e32 vcc_lo, v1, v7
                                        ; implicit-def: $vgpr8
                                        ; implicit-def: $vgpr5
	v_cndmask_b32_e32 v7, v1, v7, vcc_lo
	s_waitcnt lgkmcnt(0)
	v_cmp_lt_f32_e32 vcc_lo, v2, v6
	v_cndmask_b32_e32 v6, v2, v6, vcc_lo
                                        ; implicit-def: $vgpr2
.LBB18_909:
	s_or_saveexec_b32 s2, s2
	v_mov_b32_e32 v9, 1
	s_xor_b32 exec_lo, exec_lo, s2
	s_cbranch_execz .LBB18_913
; %bb.910:
	v_and_b32_e32 v5, 1, v5
	s_mov_b32 s3, exec_lo
	v_cmpx_eq_u32_e32 1, v5
	s_cbranch_execz .LBB18_912
; %bb.911:
	v_mov_b32_e32 v8, 1
	s_waitcnt lgkmcnt(0)
	v_mov_b32_e32 v6, v2
	v_mov_b32_e32 v7, v1
.LBB18_912:
	s_or_b32 exec_lo, exec_lo, s3
	v_mov_b32_e32 v9, v8
.LBB18_913:
	s_or_b32 exec_lo, exec_lo, s2
	v_and_b32_e32 v5, 0xff, v9
	s_waitcnt lgkmcnt(1)
	v_mov_b32_e32 v1, v7
	s_waitcnt lgkmcnt(0)
	v_mov_b32_e32 v2, v6
.LBB18_914:
	s_or_b32 exec_lo, exec_lo, s1
	v_cmp_gt_u32_e32 vcc_lo, 28, v3
	v_add_nc_u32_e32 v9, 4, v3
	s_mov_b32 s1, exec_lo
	s_waitcnt lgkmcnt(0)
	v_cndmask_b32_e64 v6, 0, 4, vcc_lo
	v_add_lshl_u32 v6, v6, v3, 2
	ds_bpermute_b32 v8, v6, v5
	ds_bpermute_b32 v7, v6, v1
	;; [unrolled: 1-line block ×3, first 2 shown]
	v_cmpx_lt_u32_e64 v9, v4
	s_cbranch_execz .LBB18_922
; %bb.915:
	s_waitcnt lgkmcnt(2)
	v_and_b32_e32 v9, v5, v8
	s_mov_b32 s2, exec_lo
	v_and_b32_e32 v9, 1, v9
	v_cmpx_eq_u32_e32 1, v9
	s_xor_b32 s2, exec_lo, s2
	s_cbranch_execz .LBB18_917
; %bb.916:
	s_waitcnt lgkmcnt(1)
	v_cmp_gt_f32_e32 vcc_lo, v1, v7
                                        ; implicit-def: $vgpr8
                                        ; implicit-def: $vgpr5
	v_cndmask_b32_e32 v7, v1, v7, vcc_lo
	s_waitcnt lgkmcnt(0)
	v_cmp_lt_f32_e32 vcc_lo, v2, v6
	v_cndmask_b32_e32 v6, v2, v6, vcc_lo
                                        ; implicit-def: $vgpr2
.LBB18_917:
	s_or_saveexec_b32 s2, s2
	v_mov_b32_e32 v9, 1
	s_xor_b32 exec_lo, exec_lo, s2
	s_cbranch_execz .LBB18_921
; %bb.918:
	v_and_b32_e32 v5, 1, v5
	s_mov_b32 s3, exec_lo
	v_cmpx_eq_u32_e32 1, v5
	s_cbranch_execz .LBB18_920
; %bb.919:
	v_mov_b32_e32 v8, 1
	s_waitcnt lgkmcnt(0)
	v_mov_b32_e32 v6, v2
	v_mov_b32_e32 v7, v1
.LBB18_920:
	s_or_b32 exec_lo, exec_lo, s3
	v_mov_b32_e32 v9, v8
.LBB18_921:
	s_or_b32 exec_lo, exec_lo, s2
	v_and_b32_e32 v5, 0xff, v9
	s_waitcnt lgkmcnt(1)
	v_mov_b32_e32 v1, v7
	s_waitcnt lgkmcnt(0)
	v_mov_b32_e32 v2, v6
.LBB18_922:
	s_or_b32 exec_lo, exec_lo, s1
	v_cmp_gt_u32_e32 vcc_lo, 24, v3
	v_add_nc_u32_e32 v9, 8, v3
	s_mov_b32 s1, exec_lo
	s_waitcnt lgkmcnt(0)
	v_cndmask_b32_e64 v6, 0, 8, vcc_lo
	v_add_lshl_u32 v6, v6, v3, 2
	ds_bpermute_b32 v8, v6, v5
	ds_bpermute_b32 v7, v6, v1
	;; [unrolled: 1-line block ×3, first 2 shown]
	v_cmpx_lt_u32_e64 v9, v4
	s_cbranch_execz .LBB18_930
; %bb.923:
	s_waitcnt lgkmcnt(2)
	v_and_b32_e32 v9, v5, v8
	s_mov_b32 s2, exec_lo
	v_and_b32_e32 v9, 1, v9
	v_cmpx_eq_u32_e32 1, v9
	s_xor_b32 s2, exec_lo, s2
	s_cbranch_execz .LBB18_925
; %bb.924:
	s_waitcnt lgkmcnt(1)
	v_cmp_gt_f32_e32 vcc_lo, v1, v7
                                        ; implicit-def: $vgpr8
                                        ; implicit-def: $vgpr5
	v_cndmask_b32_e32 v7, v1, v7, vcc_lo
	s_waitcnt lgkmcnt(0)
	v_cmp_lt_f32_e32 vcc_lo, v2, v6
	v_cndmask_b32_e32 v6, v2, v6, vcc_lo
                                        ; implicit-def: $vgpr2
.LBB18_925:
	s_or_saveexec_b32 s2, s2
	v_mov_b32_e32 v9, 1
	s_xor_b32 exec_lo, exec_lo, s2
	s_cbranch_execz .LBB18_929
; %bb.926:
	v_and_b32_e32 v5, 1, v5
	s_mov_b32 s3, exec_lo
	v_cmpx_eq_u32_e32 1, v5
	s_cbranch_execz .LBB18_928
; %bb.927:
	v_mov_b32_e32 v8, 1
	s_waitcnt lgkmcnt(0)
	v_mov_b32_e32 v6, v2
	v_mov_b32_e32 v7, v1
.LBB18_928:
	s_or_b32 exec_lo, exec_lo, s3
	v_mov_b32_e32 v9, v8
.LBB18_929:
	s_or_b32 exec_lo, exec_lo, s2
	v_and_b32_e32 v5, 0xff, v9
	s_waitcnt lgkmcnt(1)
	v_mov_b32_e32 v1, v7
	s_waitcnt lgkmcnt(0)
	v_mov_b32_e32 v2, v6
.LBB18_930:
	s_or_b32 exec_lo, exec_lo, s1
	s_waitcnt lgkmcnt(0)
	v_lshlrev_b32_e32 v6, 2, v3
	v_add_nc_u32_e32 v10, 16, v3
	v_or_b32_e32 v8, 64, v6
	v_cmp_lt_u32_e32 vcc_lo, v10, v4
	v_mov_b32_e32 v4, v5
	ds_bpermute_b32 v9, v8, v5
	ds_bpermute_b32 v7, v8, v1
	;; [unrolled: 1-line block ×3, first 2 shown]
	s_and_saveexec_b32 s1, vcc_lo
	s_cbranch_execz .LBB18_938
; %bb.931:
	s_waitcnt lgkmcnt(2)
	v_and_b32_e32 v4, v5, v9
	s_mov_b32 s2, exec_lo
	v_and_b32_e32 v4, 1, v4
	v_cmpx_eq_u32_e32 1, v4
	s_xor_b32 s2, exec_lo, s2
	s_cbranch_execz .LBB18_933
; %bb.932:
	s_waitcnt lgkmcnt(1)
	v_cmp_gt_f32_e32 vcc_lo, v1, v7
                                        ; implicit-def: $vgpr9
                                        ; implicit-def: $vgpr5
	v_cndmask_b32_e32 v7, v1, v7, vcc_lo
	s_waitcnt lgkmcnt(0)
	v_cmp_lt_f32_e32 vcc_lo, v2, v8
	v_cndmask_b32_e32 v8, v2, v8, vcc_lo
                                        ; implicit-def: $vgpr2
.LBB18_933:
	s_or_saveexec_b32 s2, s2
	v_mov_b32_e32 v4, 1
	s_xor_b32 exec_lo, exec_lo, s2
	s_cbranch_execz .LBB18_937
; %bb.934:
	v_and_b32_e32 v4, 1, v5
	s_mov_b32 s3, exec_lo
	v_cmpx_eq_u32_e32 1, v4
	s_cbranch_execz .LBB18_936
; %bb.935:
	v_mov_b32_e32 v9, 1
	s_waitcnt lgkmcnt(0)
	v_mov_b32_e32 v8, v2
	v_mov_b32_e32 v7, v1
.LBB18_936:
	s_or_b32 exec_lo, exec_lo, s3
	v_mov_b32_e32 v4, v9
.LBB18_937:
	s_or_b32 exec_lo, exec_lo, s2
	v_and_b32_e32 v5, 0xff, v4
	s_waitcnt lgkmcnt(0)
	v_mov_b32_e32 v2, v8
	v_mov_b32_e32 v1, v7
.LBB18_938:
	s_or_b32 exec_lo, exec_lo, s1
	s_mov_b32 s1, exec_lo
	v_cmpx_eq_u32_e32 0, v3
	s_cbranch_execz .LBB18_940
; %bb.939:
	s_waitcnt lgkmcnt(1)
	v_lshrrev_b32_e32 v7, 5, v0
	v_mul_u32_u24_e32 v7, 12, v7
	ds_write_b8 v7, v4
	ds_write2_b32 v7, v1, v2 offset0:1 offset1:2
.LBB18_940:
	s_or_b32 exec_lo, exec_lo, s1
	s_mov_b32 s1, exec_lo
	s_waitcnt lgkmcnt(0)
	s_barrier
	buffer_gl0_inv
	v_cmpx_gt_u32_e32 8, v0
	s_cbranch_execz .LBB18_966
; %bb.941:
	v_mul_u32_u24_e32 v1, 12, v3
	v_and_b32_e32 v4, 7, v3
	s_add_i32 s0, s0, 31
	ds_read_u8 v10, v1
	ds_read2_b32 v[1:2], v1 offset0:1 offset1:2
	v_cmp_ne_u32_e32 vcc_lo, 7, v4
	v_add_nc_u32_e32 v11, 1, v4
	s_lshr_b32 s0, s0, 5
	v_add_co_ci_u32_e64 v5, null, 0, v3, vcc_lo
	v_cmp_gt_u32_e32 vcc_lo, s0, v11
	v_lshlrev_b32_e32 v8, 2, v5
	s_waitcnt lgkmcnt(1)
	v_and_b32_e32 v5, 0xff, v10
	s_waitcnt lgkmcnt(0)
	ds_bpermute_b32 v7, v8, v1
	v_mov_b32_e32 v11, v1
	v_mov_b32_e32 v12, v2
	ds_bpermute_b32 v9, v8, v5
	ds_bpermute_b32 v8, v8, v2
	s_and_saveexec_b32 s2, vcc_lo
	s_cbranch_execz .LBB18_949
; %bb.942:
	s_waitcnt lgkmcnt(1)
	v_and_b32_e32 v5, v5, v9
	s_mov_b32 s3, exec_lo
	v_and_b32_e32 v5, 1, v5
	v_cmpx_eq_u32_e32 1, v5
	s_xor_b32 s3, exec_lo, s3
	s_cbranch_execz .LBB18_944
; %bb.943:
	v_cmp_gt_f32_e32 vcc_lo, v1, v7
                                        ; implicit-def: $vgpr9
                                        ; implicit-def: $vgpr10
	v_cndmask_b32_e32 v7, v1, v7, vcc_lo
	s_waitcnt lgkmcnt(0)
	v_cmp_lt_f32_e32 vcc_lo, v2, v8
	v_cndmask_b32_e32 v8, v2, v8, vcc_lo
                                        ; implicit-def: $vgpr2
.LBB18_944:
	s_or_saveexec_b32 s3, s3
	v_mov_b32_e32 v5, 1
	s_xor_b32 exec_lo, exec_lo, s3
	s_cbranch_execz .LBB18_948
; %bb.945:
	v_and_b32_e32 v5, 1, v10
	s_mov_b32 s8, exec_lo
	v_cmpx_eq_u32_e32 1, v5
	s_cbranch_execz .LBB18_947
; %bb.946:
	v_mov_b32_e32 v9, 1
	s_waitcnt lgkmcnt(0)
	v_mov_b32_e32 v8, v2
	v_mov_b32_e32 v7, v1
.LBB18_947:
	s_or_b32 exec_lo, exec_lo, s8
	v_mov_b32_e32 v5, v9
.LBB18_948:
	s_or_b32 exec_lo, exec_lo, s3
	v_and_b32_e32 v5, 0xff, v5
	v_mov_b32_e32 v11, v7
	s_waitcnt lgkmcnt(0)
	v_mov_b32_e32 v12, v8
	v_mov_b32_e32 v2, v8
	;; [unrolled: 1-line block ×3, first 2 shown]
.LBB18_949:
	s_or_b32 exec_lo, exec_lo, s2
	v_cmp_gt_u32_e32 vcc_lo, 6, v4
	s_waitcnt lgkmcnt(1)
	v_add_nc_u32_e32 v9, 2, v4
	s_mov_b32 s2, exec_lo
	v_cndmask_b32_e64 v7, 0, 2, vcc_lo
	v_add_lshl_u32 v7, v7, v3, 2
	s_waitcnt lgkmcnt(0)
	ds_bpermute_b32 v8, v7, v5
	ds_bpermute_b32 v3, v7, v11
	;; [unrolled: 1-line block ×3, first 2 shown]
	v_cmpx_gt_u32_e64 s0, v9
	s_cbranch_execz .LBB18_957
; %bb.950:
	s_waitcnt lgkmcnt(2)
	v_and_b32_e32 v9, v5, v8
	s_mov_b32 s3, exec_lo
	v_and_b32_e32 v9, 1, v9
	v_cmpx_eq_u32_e32 1, v9
	s_xor_b32 s3, exec_lo, s3
	s_cbranch_execz .LBB18_952
; %bb.951:
	s_waitcnt lgkmcnt(1)
	v_cmp_gt_f32_e32 vcc_lo, v1, v3
                                        ; implicit-def: $vgpr8
                                        ; implicit-def: $vgpr5
	v_cndmask_b32_e32 v3, v1, v3, vcc_lo
	s_waitcnt lgkmcnt(0)
	v_cmp_lt_f32_e32 vcc_lo, v2, v7
	v_cndmask_b32_e32 v7, v2, v7, vcc_lo
                                        ; implicit-def: $vgpr2
.LBB18_952:
	s_or_saveexec_b32 s3, s3
	v_mov_b32_e32 v9, 1
	s_xor_b32 exec_lo, exec_lo, s3
	s_cbranch_execz .LBB18_956
; %bb.953:
	v_and_b32_e32 v5, 1, v5
	s_mov_b32 s8, exec_lo
	v_cmpx_eq_u32_e32 1, v5
	s_cbranch_execz .LBB18_955
; %bb.954:
	v_mov_b32_e32 v8, 1
	s_waitcnt lgkmcnt(0)
	v_mov_b32_e32 v7, v2
	v_mov_b32_e32 v3, v1
.LBB18_955:
	s_or_b32 exec_lo, exec_lo, s8
	v_mov_b32_e32 v9, v8
.LBB18_956:
	s_or_b32 exec_lo, exec_lo, s3
	v_and_b32_e32 v5, 0xff, v9
	s_waitcnt lgkmcnt(1)
	v_mov_b32_e32 v11, v3
	s_waitcnt lgkmcnt(0)
	v_mov_b32_e32 v12, v7
	v_mov_b32_e32 v2, v7
	;; [unrolled: 1-line block ×3, first 2 shown]
.LBB18_957:
	s_or_b32 exec_lo, exec_lo, s2
	v_or_b32_e32 v6, 16, v6
	v_add_nc_u32_e32 v4, 4, v4
	s_waitcnt lgkmcnt(0)
	ds_bpermute_b32 v7, v6, v5
	ds_bpermute_b32 v3, v6, v11
	;; [unrolled: 1-line block ×3, first 2 shown]
	v_cmp_gt_u32_e32 vcc_lo, s0, v4
	s_and_saveexec_b32 s0, vcc_lo
	s_cbranch_execz .LBB18_965
; %bb.958:
	s_waitcnt lgkmcnt(2)
	v_and_b32_e32 v4, v5, v7
	s_mov_b32 s2, exec_lo
	v_and_b32_e32 v4, 1, v4
	v_cmpx_eq_u32_e32 1, v4
	s_xor_b32 s2, exec_lo, s2
	s_cbranch_execz .LBB18_960
; %bb.959:
	s_waitcnt lgkmcnt(1)
	v_cmp_gt_f32_e32 vcc_lo, v1, v3
                                        ; implicit-def: $vgpr7
                                        ; implicit-def: $vgpr5
	v_cndmask_b32_e32 v3, v1, v3, vcc_lo
	s_waitcnt lgkmcnt(0)
	v_cmp_lt_f32_e32 vcc_lo, v2, v6
	v_cndmask_b32_e32 v6, v2, v6, vcc_lo
                                        ; implicit-def: $vgpr2
.LBB18_960:
	s_or_saveexec_b32 s2, s2
	v_mov_b32_e32 v4, 1
	s_xor_b32 exec_lo, exec_lo, s2
	s_cbranch_execz .LBB18_964
; %bb.961:
	v_and_b32_e32 v4, 1, v5
	s_mov_b32 s3, exec_lo
	v_cmpx_eq_u32_e32 1, v4
	s_cbranch_execz .LBB18_963
; %bb.962:
	v_mov_b32_e32 v7, 1
	s_waitcnt lgkmcnt(0)
	v_mov_b32_e32 v6, v2
	v_mov_b32_e32 v3, v1
.LBB18_963:
	s_or_b32 exec_lo, exec_lo, s3
	v_mov_b32_e32 v4, v7
.LBB18_964:
	s_or_b32 exec_lo, exec_lo, s2
	s_waitcnt lgkmcnt(0)
	v_mov_b32_e32 v2, v6
	v_mov_b32_e32 v1, v3
	v_mov_b32_e32 v5, v4
.LBB18_965:
	s_or_b32 exec_lo, exec_lo, s0
.LBB18_966:
	s_or_b32 exec_lo, exec_lo, s1
.LBB18_967:
	s_mov_b32 s0, exec_lo
                                        ; implicit-def: $vgpr4
                                        ; implicit-def: $vgpr6
	v_cmpx_eq_u32_e32 0, v0
	s_xor_b32 s0, exec_lo, s0
	s_cbranch_execz .LBB18_975
; %bb.968:
	v_mov_b32_e32 v4, s25
	s_waitcnt lgkmcnt(1)
	v_mov_b32_e32 v3, s24
	s_waitcnt lgkmcnt(0)
	v_mov_b32_e32 v6, s26
	s_cmp_eq_u64 s[22:23], 0
	s_cbranch_scc1 .LBB18_974
; %bb.969:
	v_and_b32_e32 v3, 1, v5
	s_bitcmp1_b32 s26, 0
                                        ; implicit-def: $vgpr6
	s_cselect_b32 s1, -1, 0
	v_cmp_eq_u32_e32 vcc_lo, 1, v3
                                        ; implicit-def: $vgpr4
	s_and_b32 s2, s1, vcc_lo
	s_xor_b32 s2, s2, -1
	s_and_saveexec_b32 s3, s2
	s_xor_b32 s2, exec_lo, s3
; %bb.970:
	v_cndmask_b32_e64 v6, v5, 1, s1
	v_cndmask_b32_e64 v3, v1, s24, s1
	;; [unrolled: 1-line block ×3, first 2 shown]
                                        ; implicit-def: $vgpr1
; %bb.971:
	s_andn2_saveexec_b32 s1, s2
; %bb.972:
	v_cmp_gt_f32_e32 vcc_lo, s24, v1
	v_mov_b32_e32 v6, 1
	v_cndmask_b32_e32 v3, s24, v1, vcc_lo
	v_cmp_lt_f32_e32 vcc_lo, s25, v2
	v_cndmask_b32_e32 v4, s25, v2, vcc_lo
; %bb.973:
	s_or_b32 exec_lo, exec_lo, s1
.LBB18_974:
	s_or_b32 s12, s12, exec_lo
.LBB18_975:
	s_or_b32 exec_lo, exec_lo, s0
	s_branch .LBB18_1032
.LBB18_976:
	s_cmp_eq_u32 s27, 1
	s_cbranch_scc0 .LBB18_1031
; %bb.977:
	s_mov_b32 s7, 0
	s_lshr_b64 s[2:3], s[22:23], 8
	s_lshl_b32 s1, s6, 8
	s_cmp_lg_u64 s[2:3], s[6:7]
	s_cbranch_scc0 .LBB18_1035
; %bb.978:
	s_mul_i32 s0, s1, 12
	s_mul_hi_u32 s3, s1, 12
	s_add_u32 s2, s20, s0
	s_addc_u32 s3, s21, s3
                                        ; implicit-def: $vgpr7
	s_waitcnt lgkmcnt(0)
	v_mad_u64_u32 v[1:2], null, v0, 12, s[2:3]
	s_clause 0x1
	global_load_ubyte v3, v[1:2], off
	global_load_dwordx2 v[1:2], v[1:2], off offset:4
	s_waitcnt vmcnt(1)
	v_and_b32_e32 v4, 0xff, v3
	v_and_b32_e32 v3, 1, v3
	v_mov_b32_dpp v5, v4 quad_perm:[1,0,3,2] row_mask:0xf bank_mask:0xf
	v_cmp_eq_u32_e64 s0, 1, v3
	s_waitcnt vmcnt(0)
	v_mov_b32_dpp v3, v1 quad_perm:[1,0,3,2] row_mask:0xf bank_mask:0xf
	v_and_b32_e32 v5, 1, v5
	v_cmp_eq_u32_e32 vcc_lo, 1, v5
	v_mov_b32_dpp v5, v2 quad_perm:[1,0,3,2] row_mask:0xf bank_mask:0xf
	s_and_b32 s0, vcc_lo, s0
	s_xor_b32 s0, s0, -1
	s_and_saveexec_b32 s2, s0
	s_xor_b32 s0, exec_lo, s2
	s_cbranch_execz .LBB18_982
; %bb.979:
	v_mov_b32_e32 v7, 1
	s_xor_b32 s3, vcc_lo, -1
	s_and_saveexec_b32 s2, s3
; %bb.980:
	v_mov_b32_e32 v5, v2
	v_mov_b32_e32 v3, v1
	;; [unrolled: 1-line block ×3, first 2 shown]
; %bb.981:
	s_or_b32 exec_lo, exec_lo, s2
                                        ; implicit-def: $vgpr1_vgpr2
.LBB18_982:
	s_andn2_saveexec_b32 s0, s0
; %bb.983:
	v_cmp_lt_f32_e32 vcc_lo, v1, v3
	v_mov_b32_e32 v7, 1
	v_cndmask_b32_e32 v3, v3, v1, vcc_lo
	v_cmp_gt_f32_e32 vcc_lo, v2, v5
	v_cndmask_b32_e32 v5, v5, v2, vcc_lo
; %bb.984:
	s_or_b32 exec_lo, exec_lo, s0
	v_mov_b32_dpp v1, v7 quad_perm:[2,3,0,1] row_mask:0xf bank_mask:0xf
	v_mov_b32_dpp v4, v5 quad_perm:[2,3,0,1] row_mask:0xf bank_mask:0xf
	v_and_b32_e32 v2, v1, v7
	v_and_b32_e32 v6, 1, v1
	v_mov_b32_dpp v1, v3 quad_perm:[2,3,0,1] row_mask:0xf bank_mask:0xf
	v_and_b32_e32 v2, 1, v2
	v_cmp_ne_u32_e32 vcc_lo, 1, v6
                                        ; implicit-def: $vgpr6
	v_cmp_ne_u32_e64 s0, 1, v2
	s_and_saveexec_b32 s2, s0
	s_xor_b32 s0, exec_lo, s2
	s_cbranch_execz .LBB18_988
; %bb.985:
	v_mov_b32_e32 v6, 1
	s_and_saveexec_b32 s2, vcc_lo
; %bb.986:
	v_mov_b32_e32 v4, v5
	v_mov_b32_e32 v1, v3
	;; [unrolled: 1-line block ×3, first 2 shown]
; %bb.987:
	s_or_b32 exec_lo, exec_lo, s2
                                        ; implicit-def: $vgpr3
                                        ; implicit-def: $vgpr5
.LBB18_988:
	s_andn2_saveexec_b32 s0, s0
; %bb.989:
	v_cmp_lt_f32_e32 vcc_lo, v3, v1
	v_mov_b32_e32 v6, 1
	v_cndmask_b32_e32 v1, v1, v3, vcc_lo
	v_cmp_gt_f32_e32 vcc_lo, v5, v4
	v_cndmask_b32_e32 v4, v4, v5, vcc_lo
; %bb.990:
	s_or_b32 exec_lo, exec_lo, s0
	v_mov_b32_dpp v2, v6 row_ror:4 row_mask:0xf bank_mask:0xf
	v_and_b32_e32 v3, v2, v6
	v_and_b32_e32 v5, 1, v2
	v_mov_b32_dpp v2, v1 row_ror:4 row_mask:0xf bank_mask:0xf
	v_and_b32_e32 v7, 1, v3
	v_mov_b32_dpp v3, v4 row_ror:4 row_mask:0xf bank_mask:0xf
	v_cmp_ne_u32_e32 vcc_lo, 1, v5
                                        ; implicit-def: $vgpr5
	v_cmp_ne_u32_e64 s0, 1, v7
	s_and_saveexec_b32 s2, s0
	s_xor_b32 s0, exec_lo, s2
	s_cbranch_execz .LBB18_994
; %bb.991:
	v_mov_b32_e32 v5, 1
	s_and_saveexec_b32 s2, vcc_lo
; %bb.992:
	v_mov_b32_e32 v3, v4
	v_mov_b32_e32 v2, v1
	;; [unrolled: 1-line block ×3, first 2 shown]
; %bb.993:
	s_or_b32 exec_lo, exec_lo, s2
                                        ; implicit-def: $vgpr1
                                        ; implicit-def: $vgpr4
.LBB18_994:
	s_andn2_saveexec_b32 s0, s0
; %bb.995:
	v_cmp_lt_f32_e32 vcc_lo, v1, v2
	v_mov_b32_e32 v5, 1
	v_cndmask_b32_e32 v2, v2, v1, vcc_lo
	v_cmp_gt_f32_e32 vcc_lo, v4, v3
	v_cndmask_b32_e32 v3, v3, v4, vcc_lo
; %bb.996:
	s_or_b32 exec_lo, exec_lo, s0
	v_mov_b32_dpp v1, v5 row_ror:8 row_mask:0xf bank_mask:0xf
	v_and_b32_e32 v4, v1, v5
	v_and_b32_e32 v6, 1, v1
	v_mov_b32_dpp v1, v2 row_ror:8 row_mask:0xf bank_mask:0xf
	v_and_b32_e32 v7, 1, v4
	v_mov_b32_dpp v4, v3 row_ror:8 row_mask:0xf bank_mask:0xf
	v_cmp_ne_u32_e32 vcc_lo, 1, v6
                                        ; implicit-def: $vgpr6
	v_cmp_ne_u32_e64 s0, 1, v7
	s_and_saveexec_b32 s2, s0
	s_xor_b32 s0, exec_lo, s2
	s_cbranch_execz .LBB18_1000
; %bb.997:
	v_mov_b32_e32 v6, 1
	s_and_saveexec_b32 s2, vcc_lo
; %bb.998:
	v_mov_b32_e32 v4, v3
	v_mov_b32_e32 v1, v2
	;; [unrolled: 1-line block ×3, first 2 shown]
; %bb.999:
	s_or_b32 exec_lo, exec_lo, s2
                                        ; implicit-def: $vgpr2
                                        ; implicit-def: $vgpr3
.LBB18_1000:
	s_andn2_saveexec_b32 s0, s0
; %bb.1001:
	v_cmp_lt_f32_e32 vcc_lo, v2, v1
	v_mov_b32_e32 v6, 1
	v_cndmask_b32_e32 v1, v1, v2, vcc_lo
	v_cmp_gt_f32_e32 vcc_lo, v3, v4
	v_cndmask_b32_e32 v4, v4, v3, vcc_lo
; %bb.1002:
	s_or_b32 exec_lo, exec_lo, s0
	ds_swizzle_b32 v5, v6 offset:swizzle(BROADCAST,32,15)
	ds_swizzle_b32 v3, v1 offset:swizzle(BROADCAST,32,15)
	;; [unrolled: 1-line block ×3, first 2 shown]
	s_waitcnt lgkmcnt(2)
	v_and_b32_e32 v7, v5, v6
	v_and_b32_e32 v5, 1, v5
	;; [unrolled: 1-line block ×3, first 2 shown]
	v_cmp_ne_u32_e32 vcc_lo, 1, v5
                                        ; implicit-def: $vgpr5
	v_cmp_ne_u32_e64 s0, 1, v7
	s_and_saveexec_b32 s2, s0
	s_xor_b32 s0, exec_lo, s2
	s_cbranch_execz .LBB18_1006
; %bb.1003:
	v_mov_b32_e32 v5, 1
	s_and_saveexec_b32 s2, vcc_lo
	s_cbranch_execz .LBB18_1005
; %bb.1004:
	s_waitcnt lgkmcnt(0)
	v_mov_b32_e32 v2, v4
	v_mov_b32_e32 v3, v1
	v_mov_b32_e32 v5, v6
.LBB18_1005:
	s_or_b32 exec_lo, exec_lo, s2
                                        ; implicit-def: $vgpr1
                                        ; implicit-def: $vgpr4
.LBB18_1006:
	s_andn2_saveexec_b32 s0, s0
	s_cbranch_execz .LBB18_1008
; %bb.1007:
	s_waitcnt lgkmcnt(1)
	v_cmp_lt_f32_e32 vcc_lo, v1, v3
	v_mov_b32_e32 v5, 1
	v_cndmask_b32_e32 v3, v3, v1, vcc_lo
	s_waitcnt lgkmcnt(0)
	v_cmp_gt_f32_e32 vcc_lo, v4, v2
	v_cndmask_b32_e32 v2, v2, v4, vcc_lo
.LBB18_1008:
	s_or_b32 exec_lo, exec_lo, s0
	v_mov_b32_e32 v4, 0
	s_mov_b32 s0, exec_lo
	ds_bpermute_b32 v5, v4, v5 offset:124
	s_waitcnt lgkmcnt(2)
	ds_bpermute_b32 v1, v4, v3 offset:124
	s_waitcnt lgkmcnt(2)
	ds_bpermute_b32 v2, v4, v2 offset:124
	v_mbcnt_lo_u32_b32 v3, -1, 0
	v_cmpx_eq_u32_e32 0, v3
	s_cbranch_execz .LBB18_1010
; %bb.1009:
	v_lshrrev_b32_e32 v4, 5, v0
	v_mul_u32_u24_e32 v4, 12, v4
	s_waitcnt lgkmcnt(2)
	ds_write_b8 v4, v5 offset:192
	s_waitcnt lgkmcnt(1)
	ds_write2_b32 v4, v1, v2 offset0:49 offset1:50
.LBB18_1010:
	s_or_b32 exec_lo, exec_lo, s0
	s_mov_b32 s0, exec_lo
	s_waitcnt lgkmcnt(0)
	s_barrier
	buffer_gl0_inv
	v_cmpx_gt_u32_e32 32, v0
	s_cbranch_execz .LBB18_1030
; %bb.1011:
	v_and_b32_e32 v6, 7, v3
	s_mov_b32 s2, exec_lo
	v_mul_u32_u24_e32 v1, 12, v6
	v_cmp_ne_u32_e32 vcc_lo, 7, v6
	ds_read_u8 v9, v1 offset:192
	v_add_co_ci_u32_e64 v4, null, 0, v3, vcc_lo
	ds_read2_b32 v[1:2], v1 offset0:49 offset1:50
	v_lshlrev_b32_e32 v4, 2, v4
	s_waitcnt lgkmcnt(1)
	v_and_b32_e32 v5, 0xff, v9
	ds_bpermute_b32 v7, v4, v5
	s_waitcnt lgkmcnt(1)
	ds_bpermute_b32 v5, v4, v1
	ds_bpermute_b32 v4, v4, v2
	s_waitcnt lgkmcnt(2)
	v_and_b32_e32 v8, v9, v7
	v_and_b32_e32 v8, 1, v8
	v_cmpx_eq_u32_e32 1, v8
	s_xor_b32 s2, exec_lo, s2
	s_cbranch_execz .LBB18_1013
; %bb.1012:
	s_waitcnt lgkmcnt(1)
	v_cmp_gt_f32_e32 vcc_lo, v1, v5
                                        ; implicit-def: $vgpr7
                                        ; implicit-def: $vgpr9
	v_cndmask_b32_e32 v5, v1, v5, vcc_lo
	s_waitcnt lgkmcnt(0)
	v_cmp_lt_f32_e32 vcc_lo, v2, v4
	v_cndmask_b32_e32 v4, v2, v4, vcc_lo
                                        ; implicit-def: $vgpr2
.LBB18_1013:
	s_or_saveexec_b32 s2, s2
	v_mov_b32_e32 v8, 1
	s_xor_b32 exec_lo, exec_lo, s2
	s_cbranch_execz .LBB18_1017
; %bb.1014:
	v_and_b32_e32 v8, 1, v9
	s_mov_b32 s3, exec_lo
	v_cmpx_eq_u32_e32 1, v8
	s_cbranch_execz .LBB18_1016
; %bb.1015:
	v_mov_b32_e32 v7, 1
	s_waitcnt lgkmcnt(0)
	v_mov_b32_e32 v4, v2
	v_mov_b32_e32 v5, v1
.LBB18_1016:
	s_or_b32 exec_lo, exec_lo, s3
	v_mov_b32_e32 v8, v7
.LBB18_1017:
	s_or_b32 exec_lo, exec_lo, s2
	v_cmp_gt_u32_e32 vcc_lo, 6, v6
	v_and_b32_e32 v2, 0xff, v8
	s_mov_b32 s2, exec_lo
	v_cndmask_b32_e64 v1, 0, 2, vcc_lo
	v_add_lshl_u32 v6, v1, v3, 2
	ds_bpermute_b32 v1, v6, v2
	s_waitcnt lgkmcnt(2)
	ds_bpermute_b32 v7, v6, v5
	s_waitcnt lgkmcnt(2)
	;; [unrolled: 2-line block ×3, first 2 shown]
	v_and_b32_e32 v2, v8, v1
	v_and_b32_e32 v2, 1, v2
	v_cmpx_eq_u32_e32 1, v2
	s_xor_b32 s2, exec_lo, s2
	s_cbranch_execz .LBB18_1019
; %bb.1018:
	s_waitcnt lgkmcnt(1)
	v_cmp_gt_f32_e32 vcc_lo, v5, v7
                                        ; implicit-def: $vgpr1
                                        ; implicit-def: $vgpr8
	v_cndmask_b32_e32 v7, v5, v7, vcc_lo
	s_waitcnt lgkmcnt(0)
	v_cmp_lt_f32_e32 vcc_lo, v4, v6
                                        ; implicit-def: $vgpr5
	v_cndmask_b32_e32 v6, v4, v6, vcc_lo
                                        ; implicit-def: $vgpr4
.LBB18_1019:
	s_or_saveexec_b32 s2, s2
	v_lshlrev_b32_e32 v2, 2, v3
	v_mov_b32_e32 v9, 1
	s_xor_b32 exec_lo, exec_lo, s2
	s_cbranch_execz .LBB18_1023
; %bb.1020:
	v_and_b32_e32 v3, 1, v8
	s_mov_b32 s3, exec_lo
	v_cmpx_eq_u32_e32 1, v3
	s_cbranch_execz .LBB18_1022
; %bb.1021:
	v_mov_b32_e32 v1, 1
	s_waitcnt lgkmcnt(0)
	v_mov_b32_e32 v6, v4
	v_mov_b32_e32 v7, v5
.LBB18_1022:
	s_or_b32 exec_lo, exec_lo, s3
	v_mov_b32_e32 v9, v1
.LBB18_1023:
	s_or_b32 exec_lo, exec_lo, s2
	v_and_b32_e32 v1, 0xff, v9
	v_or_b32_e32 v2, 16, v2
	s_mov_b32 s2, exec_lo
	ds_bpermute_b32 v3, v2, v1
	s_waitcnt lgkmcnt(2)
	ds_bpermute_b32 v1, v2, v7
	s_waitcnt lgkmcnt(2)
	;; [unrolled: 2-line block ×3, first 2 shown]
	v_and_b32_e32 v4, v9, v3
	v_and_b32_e32 v4, 1, v4
	v_cmpx_eq_u32_e32 1, v4
	s_xor_b32 s2, exec_lo, s2
	s_cbranch_execz .LBB18_1025
; %bb.1024:
	s_waitcnt lgkmcnt(1)
	v_cmp_gt_f32_e32 vcc_lo, v7, v1
                                        ; implicit-def: $vgpr3
                                        ; implicit-def: $vgpr9
	v_cndmask_b32_e32 v1, v7, v1, vcc_lo
	s_waitcnt lgkmcnt(0)
	v_cmp_lt_f32_e32 vcc_lo, v6, v2
                                        ; implicit-def: $vgpr7
	v_cndmask_b32_e32 v2, v6, v2, vcc_lo
                                        ; implicit-def: $vgpr6
.LBB18_1025:
	s_or_saveexec_b32 s2, s2
	v_mov_b32_e32 v5, 1
	s_xor_b32 exec_lo, exec_lo, s2
	s_cbranch_execz .LBB18_1029
; %bb.1026:
	v_and_b32_e32 v4, 1, v9
	s_mov_b32 s3, exec_lo
	v_cmpx_eq_u32_e32 1, v4
	s_cbranch_execz .LBB18_1028
; %bb.1027:
	v_mov_b32_e32 v3, 1
	s_waitcnt lgkmcnt(0)
	v_mov_b32_e32 v2, v6
	v_mov_b32_e32 v1, v7
.LBB18_1028:
	s_or_b32 exec_lo, exec_lo, s3
	v_mov_b32_e32 v5, v3
.LBB18_1029:
	s_or_b32 exec_lo, exec_lo, s2
.LBB18_1030:
	s_or_b32 exec_lo, exec_lo, s0
	s_branch .LBB18_1107
.LBB18_1031:
                                        ; implicit-def: $vgpr4
                                        ; implicit-def: $vgpr6
                                        ; implicit-def: $sgpr6_sgpr7
.LBB18_1032:
	s_and_saveexec_b32 s0, s12
	s_cbranch_execz .LBB18_1034
.LBB18_1033:
	s_load_dwordx2 s[0:1], s[4:5], 0x18
	s_mul_i32 s2, s7, 12
	s_mul_hi_u32 s3, s6, 12
	s_mul_i32 s4, s6, 12
	v_mov_b32_e32 v0, 0
	s_add_i32 s3, s3, s2
	s_waitcnt lgkmcnt(0)
	s_add_u32 s0, s0, s4
	s_addc_u32 s1, s1, s3
	global_store_byte v0, v6, s[0:1]
	global_store_dwordx2 v0, v[3:4], s[0:1] offset:4
.LBB18_1034:
	s_endpgm
.LBB18_1035:
                                        ; implicit-def: $vgpr2
                                        ; implicit-def: $vgpr5
	s_cbranch_execz .LBB18_1107
; %bb.1036:
	v_mov_b32_e32 v8, 0
	s_waitcnt lgkmcnt(1)
	v_mov_b32_e32 v1, 0
	s_waitcnt lgkmcnt(0)
	v_mov_b32_e32 v2, 0
	s_sub_i32 s0, s22, s1
	s_mov_b32 s2, exec_lo
	v_cmpx_gt_u32_e64 s0, v0
	s_cbranch_execz .LBB18_1038
; %bb.1037:
	s_mul_i32 s3, s1, 12
	s_mul_hi_u32 s1, s1, 12
	s_add_u32 s8, s20, s3
	s_addc_u32 s9, s21, s1
	v_mad_u64_u32 v[1:2], null, v0, 12, s[8:9]
	s_clause 0x1
	global_load_ubyte v8, v[1:2], off
	global_load_dwordx2 v[1:2], v[1:2], off offset:4
.LBB18_1038:
	s_or_b32 exec_lo, exec_lo, s2
	v_mbcnt_lo_u32_b32 v3, -1, 0
	s_waitcnt vmcnt(1)
	v_and_b32_e32 v5, 0xff, v8
	s_min_u32 s0, s0, 0x100
	s_mov_b32 s1, exec_lo
	v_cmp_ne_u32_e32 vcc_lo, 31, v3
	v_add_nc_u32_e32 v10, 1, v3
	v_add_co_ci_u32_e64 v4, null, 0, v3, vcc_lo
	v_lshlrev_b32_e32 v4, 2, v4
	ds_bpermute_b32 v9, v4, v5
	s_waitcnt vmcnt(0)
	ds_bpermute_b32 v6, v4, v1
	ds_bpermute_b32 v7, v4, v2
	v_and_b32_e32 v4, 0xe0, v0
	v_sub_nc_u32_e64 v4, s0, v4 clamp
	v_cmpx_lt_u32_e64 v10, v4
	s_cbranch_execz .LBB18_1046
; %bb.1039:
	s_waitcnt lgkmcnt(2)
	v_and_b32_e32 v5, v9, v5
	s_mov_b32 s2, exec_lo
	v_cmpx_ne_u32_e32 0, v5
	s_xor_b32 s2, exec_lo, s2
	s_cbranch_execz .LBB18_1041
; %bb.1040:
	s_waitcnt lgkmcnt(1)
	v_cmp_gt_f32_e32 vcc_lo, v1, v6
                                        ; implicit-def: $vgpr9
                                        ; implicit-def: $vgpr8
	v_cndmask_b32_e32 v6, v1, v6, vcc_lo
	s_waitcnt lgkmcnt(0)
	v_cmp_lt_f32_e32 vcc_lo, v2, v7
	v_cndmask_b32_e32 v7, v2, v7, vcc_lo
                                        ; implicit-def: $vgpr2
.LBB18_1041:
	s_or_saveexec_b32 s2, s2
	v_mov_b32_e32 v5, 1
	s_xor_b32 exec_lo, exec_lo, s2
	s_cbranch_execz .LBB18_1045
; %bb.1042:
	v_and_b32_e32 v5, 1, v8
	s_mov_b32 s3, exec_lo
	v_cmpx_eq_u32_e32 1, v5
	s_cbranch_execz .LBB18_1044
; %bb.1043:
	v_mov_b32_e32 v9, 1
	s_waitcnt lgkmcnt(0)
	v_mov_b32_e32 v7, v2
	v_mov_b32_e32 v6, v1
.LBB18_1044:
	s_or_b32 exec_lo, exec_lo, s3
	v_mov_b32_e32 v5, v9
.LBB18_1045:
	s_or_b32 exec_lo, exec_lo, s2
	v_and_b32_e32 v5, 0xff, v5
	s_waitcnt lgkmcnt(1)
	v_mov_b32_e32 v1, v6
	s_waitcnt lgkmcnt(0)
	v_mov_b32_e32 v2, v7
.LBB18_1046:
	s_or_b32 exec_lo, exec_lo, s1
	v_cmp_gt_u32_e32 vcc_lo, 30, v3
	s_waitcnt lgkmcnt(2)
	v_add_nc_u32_e32 v9, 2, v3
	s_mov_b32 s1, exec_lo
	s_waitcnt lgkmcnt(1)
	v_cndmask_b32_e64 v6, 0, 2, vcc_lo
	v_add_lshl_u32 v6, v6, v3, 2
	ds_bpermute_b32 v8, v6, v5
	s_waitcnt lgkmcnt(1)
	ds_bpermute_b32 v7, v6, v1
	ds_bpermute_b32 v6, v6, v2
	v_cmpx_lt_u32_e64 v9, v4
	s_cbranch_execz .LBB18_1054
; %bb.1047:
	s_waitcnt lgkmcnt(2)
	v_and_b32_e32 v9, v5, v8
	s_mov_b32 s2, exec_lo
	v_and_b32_e32 v9, 1, v9
	v_cmpx_eq_u32_e32 1, v9
	s_xor_b32 s2, exec_lo, s2
	s_cbranch_execz .LBB18_1049
; %bb.1048:
	s_waitcnt lgkmcnt(1)
	v_cmp_gt_f32_e32 vcc_lo, v1, v7
                                        ; implicit-def: $vgpr8
                                        ; implicit-def: $vgpr5
	v_cndmask_b32_e32 v7, v1, v7, vcc_lo
	s_waitcnt lgkmcnt(0)
	v_cmp_lt_f32_e32 vcc_lo, v2, v6
	v_cndmask_b32_e32 v6, v2, v6, vcc_lo
                                        ; implicit-def: $vgpr2
.LBB18_1049:
	s_or_saveexec_b32 s2, s2
	v_mov_b32_e32 v9, 1
	s_xor_b32 exec_lo, exec_lo, s2
	s_cbranch_execz .LBB18_1053
; %bb.1050:
	v_and_b32_e32 v5, 1, v5
	s_mov_b32 s3, exec_lo
	v_cmpx_eq_u32_e32 1, v5
	s_cbranch_execz .LBB18_1052
; %bb.1051:
	v_mov_b32_e32 v8, 1
	s_waitcnt lgkmcnt(0)
	v_mov_b32_e32 v6, v2
	v_mov_b32_e32 v7, v1
.LBB18_1052:
	s_or_b32 exec_lo, exec_lo, s3
	v_mov_b32_e32 v9, v8
.LBB18_1053:
	s_or_b32 exec_lo, exec_lo, s2
	v_and_b32_e32 v5, 0xff, v9
	s_waitcnt lgkmcnt(1)
	v_mov_b32_e32 v1, v7
	s_waitcnt lgkmcnt(0)
	v_mov_b32_e32 v2, v6
.LBB18_1054:
	s_or_b32 exec_lo, exec_lo, s1
	v_cmp_gt_u32_e32 vcc_lo, 28, v3
	v_add_nc_u32_e32 v9, 4, v3
	s_mov_b32 s1, exec_lo
	s_waitcnt lgkmcnt(0)
	v_cndmask_b32_e64 v6, 0, 4, vcc_lo
	v_add_lshl_u32 v6, v6, v3, 2
	ds_bpermute_b32 v8, v6, v5
	ds_bpermute_b32 v7, v6, v1
	;; [unrolled: 1-line block ×3, first 2 shown]
	v_cmpx_lt_u32_e64 v9, v4
	s_cbranch_execz .LBB18_1062
; %bb.1055:
	s_waitcnt lgkmcnt(2)
	v_and_b32_e32 v9, v5, v8
	s_mov_b32 s2, exec_lo
	v_and_b32_e32 v9, 1, v9
	v_cmpx_eq_u32_e32 1, v9
	s_xor_b32 s2, exec_lo, s2
	s_cbranch_execz .LBB18_1057
; %bb.1056:
	s_waitcnt lgkmcnt(1)
	v_cmp_gt_f32_e32 vcc_lo, v1, v7
                                        ; implicit-def: $vgpr8
                                        ; implicit-def: $vgpr5
	v_cndmask_b32_e32 v7, v1, v7, vcc_lo
	s_waitcnt lgkmcnt(0)
	v_cmp_lt_f32_e32 vcc_lo, v2, v6
	v_cndmask_b32_e32 v6, v2, v6, vcc_lo
                                        ; implicit-def: $vgpr2
.LBB18_1057:
	s_or_saveexec_b32 s2, s2
	v_mov_b32_e32 v9, 1
	s_xor_b32 exec_lo, exec_lo, s2
	s_cbranch_execz .LBB18_1061
; %bb.1058:
	v_and_b32_e32 v5, 1, v5
	s_mov_b32 s3, exec_lo
	v_cmpx_eq_u32_e32 1, v5
	s_cbranch_execz .LBB18_1060
; %bb.1059:
	v_mov_b32_e32 v8, 1
	s_waitcnt lgkmcnt(0)
	v_mov_b32_e32 v6, v2
	v_mov_b32_e32 v7, v1
.LBB18_1060:
	s_or_b32 exec_lo, exec_lo, s3
	v_mov_b32_e32 v9, v8
.LBB18_1061:
	s_or_b32 exec_lo, exec_lo, s2
	v_and_b32_e32 v5, 0xff, v9
	s_waitcnt lgkmcnt(1)
	v_mov_b32_e32 v1, v7
	s_waitcnt lgkmcnt(0)
	v_mov_b32_e32 v2, v6
.LBB18_1062:
	s_or_b32 exec_lo, exec_lo, s1
	v_cmp_gt_u32_e32 vcc_lo, 24, v3
	v_add_nc_u32_e32 v9, 8, v3
	s_mov_b32 s1, exec_lo
	s_waitcnt lgkmcnt(0)
	v_cndmask_b32_e64 v6, 0, 8, vcc_lo
	v_add_lshl_u32 v6, v6, v3, 2
	ds_bpermute_b32 v8, v6, v5
	ds_bpermute_b32 v7, v6, v1
	;; [unrolled: 1-line block ×3, first 2 shown]
	v_cmpx_lt_u32_e64 v9, v4
	s_cbranch_execz .LBB18_1070
; %bb.1063:
	s_waitcnt lgkmcnt(2)
	v_and_b32_e32 v9, v5, v8
	s_mov_b32 s2, exec_lo
	v_and_b32_e32 v9, 1, v9
	v_cmpx_eq_u32_e32 1, v9
	s_xor_b32 s2, exec_lo, s2
	s_cbranch_execz .LBB18_1065
; %bb.1064:
	s_waitcnt lgkmcnt(1)
	v_cmp_gt_f32_e32 vcc_lo, v1, v7
                                        ; implicit-def: $vgpr8
                                        ; implicit-def: $vgpr5
	v_cndmask_b32_e32 v7, v1, v7, vcc_lo
	s_waitcnt lgkmcnt(0)
	v_cmp_lt_f32_e32 vcc_lo, v2, v6
	v_cndmask_b32_e32 v6, v2, v6, vcc_lo
                                        ; implicit-def: $vgpr2
.LBB18_1065:
	s_or_saveexec_b32 s2, s2
	v_mov_b32_e32 v9, 1
	s_xor_b32 exec_lo, exec_lo, s2
	s_cbranch_execz .LBB18_1069
; %bb.1066:
	v_and_b32_e32 v5, 1, v5
	s_mov_b32 s3, exec_lo
	v_cmpx_eq_u32_e32 1, v5
	s_cbranch_execz .LBB18_1068
; %bb.1067:
	v_mov_b32_e32 v8, 1
	s_waitcnt lgkmcnt(0)
	v_mov_b32_e32 v6, v2
	v_mov_b32_e32 v7, v1
.LBB18_1068:
	s_or_b32 exec_lo, exec_lo, s3
	v_mov_b32_e32 v9, v8
.LBB18_1069:
	s_or_b32 exec_lo, exec_lo, s2
	v_and_b32_e32 v5, 0xff, v9
	s_waitcnt lgkmcnt(1)
	v_mov_b32_e32 v1, v7
	s_waitcnt lgkmcnt(0)
	v_mov_b32_e32 v2, v6
.LBB18_1070:
	s_or_b32 exec_lo, exec_lo, s1
	s_waitcnt lgkmcnt(0)
	v_lshlrev_b32_e32 v6, 2, v3
	v_add_nc_u32_e32 v10, 16, v3
	v_or_b32_e32 v8, 64, v6
	v_cmp_lt_u32_e32 vcc_lo, v10, v4
	v_mov_b32_e32 v4, v5
	ds_bpermute_b32 v9, v8, v5
	ds_bpermute_b32 v7, v8, v1
	;; [unrolled: 1-line block ×3, first 2 shown]
	s_and_saveexec_b32 s1, vcc_lo
	s_cbranch_execz .LBB18_1078
; %bb.1071:
	s_waitcnt lgkmcnt(2)
	v_and_b32_e32 v4, v5, v9
	s_mov_b32 s2, exec_lo
	v_and_b32_e32 v4, 1, v4
	v_cmpx_eq_u32_e32 1, v4
	s_xor_b32 s2, exec_lo, s2
	s_cbranch_execz .LBB18_1073
; %bb.1072:
	s_waitcnt lgkmcnt(1)
	v_cmp_gt_f32_e32 vcc_lo, v1, v7
                                        ; implicit-def: $vgpr9
                                        ; implicit-def: $vgpr5
	v_cndmask_b32_e32 v7, v1, v7, vcc_lo
	s_waitcnt lgkmcnt(0)
	v_cmp_lt_f32_e32 vcc_lo, v2, v8
	v_cndmask_b32_e32 v8, v2, v8, vcc_lo
                                        ; implicit-def: $vgpr2
.LBB18_1073:
	s_or_saveexec_b32 s2, s2
	v_mov_b32_e32 v4, 1
	s_xor_b32 exec_lo, exec_lo, s2
	s_cbranch_execz .LBB18_1077
; %bb.1074:
	v_and_b32_e32 v4, 1, v5
	s_mov_b32 s3, exec_lo
	v_cmpx_eq_u32_e32 1, v4
	s_cbranch_execz .LBB18_1076
; %bb.1075:
	v_mov_b32_e32 v9, 1
	s_waitcnt lgkmcnt(0)
	v_mov_b32_e32 v8, v2
	v_mov_b32_e32 v7, v1
.LBB18_1076:
	s_or_b32 exec_lo, exec_lo, s3
	v_mov_b32_e32 v4, v9
.LBB18_1077:
	s_or_b32 exec_lo, exec_lo, s2
	v_and_b32_e32 v5, 0xff, v4
	s_waitcnt lgkmcnt(0)
	v_mov_b32_e32 v2, v8
	v_mov_b32_e32 v1, v7
.LBB18_1078:
	s_or_b32 exec_lo, exec_lo, s1
	s_mov_b32 s1, exec_lo
	v_cmpx_eq_u32_e32 0, v3
	s_cbranch_execz .LBB18_1080
; %bb.1079:
	s_waitcnt lgkmcnt(1)
	v_lshrrev_b32_e32 v7, 5, v0
	v_mul_u32_u24_e32 v7, 12, v7
	ds_write_b8 v7, v4
	ds_write2_b32 v7, v1, v2 offset0:1 offset1:2
.LBB18_1080:
	s_or_b32 exec_lo, exec_lo, s1
	s_mov_b32 s1, exec_lo
	s_waitcnt lgkmcnt(0)
	s_barrier
	buffer_gl0_inv
	v_cmpx_gt_u32_e32 8, v0
	s_cbranch_execz .LBB18_1106
; %bb.1081:
	v_mul_u32_u24_e32 v1, 12, v3
	v_and_b32_e32 v4, 7, v3
	s_add_i32 s0, s0, 31
	ds_read_u8 v10, v1
	ds_read2_b32 v[1:2], v1 offset0:1 offset1:2
	v_cmp_ne_u32_e32 vcc_lo, 7, v4
	v_add_nc_u32_e32 v11, 1, v4
	s_lshr_b32 s0, s0, 5
	v_add_co_ci_u32_e64 v5, null, 0, v3, vcc_lo
	v_cmp_gt_u32_e32 vcc_lo, s0, v11
	v_lshlrev_b32_e32 v8, 2, v5
	s_waitcnt lgkmcnt(1)
	v_and_b32_e32 v5, 0xff, v10
	s_waitcnt lgkmcnt(0)
	ds_bpermute_b32 v7, v8, v1
	v_mov_b32_e32 v11, v1
	v_mov_b32_e32 v12, v2
	ds_bpermute_b32 v9, v8, v5
	ds_bpermute_b32 v8, v8, v2
	s_and_saveexec_b32 s2, vcc_lo
	s_cbranch_execz .LBB18_1089
; %bb.1082:
	s_waitcnt lgkmcnt(1)
	v_and_b32_e32 v5, v5, v9
	s_mov_b32 s3, exec_lo
	v_and_b32_e32 v5, 1, v5
	v_cmpx_eq_u32_e32 1, v5
	s_xor_b32 s3, exec_lo, s3
	s_cbranch_execz .LBB18_1084
; %bb.1083:
	v_cmp_gt_f32_e32 vcc_lo, v1, v7
                                        ; implicit-def: $vgpr9
                                        ; implicit-def: $vgpr10
	v_cndmask_b32_e32 v7, v1, v7, vcc_lo
	s_waitcnt lgkmcnt(0)
	v_cmp_lt_f32_e32 vcc_lo, v2, v8
	v_cndmask_b32_e32 v8, v2, v8, vcc_lo
                                        ; implicit-def: $vgpr2
.LBB18_1084:
	s_or_saveexec_b32 s3, s3
	v_mov_b32_e32 v5, 1
	s_xor_b32 exec_lo, exec_lo, s3
	s_cbranch_execz .LBB18_1088
; %bb.1085:
	v_and_b32_e32 v5, 1, v10
	s_mov_b32 s8, exec_lo
	v_cmpx_eq_u32_e32 1, v5
	s_cbranch_execz .LBB18_1087
; %bb.1086:
	v_mov_b32_e32 v9, 1
	s_waitcnt lgkmcnt(0)
	v_mov_b32_e32 v8, v2
	v_mov_b32_e32 v7, v1
.LBB18_1087:
	s_or_b32 exec_lo, exec_lo, s8
	v_mov_b32_e32 v5, v9
.LBB18_1088:
	s_or_b32 exec_lo, exec_lo, s3
	v_and_b32_e32 v5, 0xff, v5
	v_mov_b32_e32 v11, v7
	s_waitcnt lgkmcnt(0)
	v_mov_b32_e32 v12, v8
	v_mov_b32_e32 v2, v8
	;; [unrolled: 1-line block ×3, first 2 shown]
.LBB18_1089:
	s_or_b32 exec_lo, exec_lo, s2
	v_cmp_gt_u32_e32 vcc_lo, 6, v4
	s_waitcnt lgkmcnt(1)
	v_add_nc_u32_e32 v9, 2, v4
	s_mov_b32 s2, exec_lo
	v_cndmask_b32_e64 v7, 0, 2, vcc_lo
	v_add_lshl_u32 v7, v7, v3, 2
	s_waitcnt lgkmcnt(0)
	ds_bpermute_b32 v8, v7, v5
	ds_bpermute_b32 v3, v7, v11
	;; [unrolled: 1-line block ×3, first 2 shown]
	v_cmpx_gt_u32_e64 s0, v9
	s_cbranch_execz .LBB18_1097
; %bb.1090:
	s_waitcnt lgkmcnt(2)
	v_and_b32_e32 v9, v5, v8
	s_mov_b32 s3, exec_lo
	v_and_b32_e32 v9, 1, v9
	v_cmpx_eq_u32_e32 1, v9
	s_xor_b32 s3, exec_lo, s3
	s_cbranch_execz .LBB18_1092
; %bb.1091:
	s_waitcnt lgkmcnt(1)
	v_cmp_gt_f32_e32 vcc_lo, v1, v3
                                        ; implicit-def: $vgpr8
                                        ; implicit-def: $vgpr5
	v_cndmask_b32_e32 v3, v1, v3, vcc_lo
	s_waitcnt lgkmcnt(0)
	v_cmp_lt_f32_e32 vcc_lo, v2, v7
	v_cndmask_b32_e32 v7, v2, v7, vcc_lo
                                        ; implicit-def: $vgpr2
.LBB18_1092:
	s_or_saveexec_b32 s3, s3
	v_mov_b32_e32 v9, 1
	s_xor_b32 exec_lo, exec_lo, s3
	s_cbranch_execz .LBB18_1096
; %bb.1093:
	v_and_b32_e32 v5, 1, v5
	s_mov_b32 s8, exec_lo
	v_cmpx_eq_u32_e32 1, v5
	s_cbranch_execz .LBB18_1095
; %bb.1094:
	v_mov_b32_e32 v8, 1
	s_waitcnt lgkmcnt(0)
	v_mov_b32_e32 v7, v2
	v_mov_b32_e32 v3, v1
.LBB18_1095:
	s_or_b32 exec_lo, exec_lo, s8
	v_mov_b32_e32 v9, v8
.LBB18_1096:
	s_or_b32 exec_lo, exec_lo, s3
	v_and_b32_e32 v5, 0xff, v9
	s_waitcnt lgkmcnt(1)
	v_mov_b32_e32 v11, v3
	s_waitcnt lgkmcnt(0)
	v_mov_b32_e32 v12, v7
	v_mov_b32_e32 v2, v7
	;; [unrolled: 1-line block ×3, first 2 shown]
.LBB18_1097:
	s_or_b32 exec_lo, exec_lo, s2
	v_or_b32_e32 v6, 16, v6
	v_add_nc_u32_e32 v4, 4, v4
	s_waitcnt lgkmcnt(0)
	ds_bpermute_b32 v7, v6, v5
	ds_bpermute_b32 v3, v6, v11
	;; [unrolled: 1-line block ×3, first 2 shown]
	v_cmp_gt_u32_e32 vcc_lo, s0, v4
	s_and_saveexec_b32 s0, vcc_lo
	s_cbranch_execz .LBB18_1105
; %bb.1098:
	s_waitcnt lgkmcnt(2)
	v_and_b32_e32 v4, v5, v7
	s_mov_b32 s2, exec_lo
	v_and_b32_e32 v4, 1, v4
	v_cmpx_eq_u32_e32 1, v4
	s_xor_b32 s2, exec_lo, s2
	s_cbranch_execz .LBB18_1100
; %bb.1099:
	s_waitcnt lgkmcnt(1)
	v_cmp_gt_f32_e32 vcc_lo, v1, v3
                                        ; implicit-def: $vgpr7
                                        ; implicit-def: $vgpr5
	v_cndmask_b32_e32 v3, v1, v3, vcc_lo
	s_waitcnt lgkmcnt(0)
	v_cmp_lt_f32_e32 vcc_lo, v2, v6
	v_cndmask_b32_e32 v6, v2, v6, vcc_lo
                                        ; implicit-def: $vgpr2
.LBB18_1100:
	s_or_saveexec_b32 s2, s2
	v_mov_b32_e32 v4, 1
	s_xor_b32 exec_lo, exec_lo, s2
	s_cbranch_execz .LBB18_1104
; %bb.1101:
	v_and_b32_e32 v4, 1, v5
	s_mov_b32 s3, exec_lo
	v_cmpx_eq_u32_e32 1, v4
	s_cbranch_execz .LBB18_1103
; %bb.1102:
	v_mov_b32_e32 v7, 1
	s_waitcnt lgkmcnt(0)
	v_mov_b32_e32 v6, v2
	v_mov_b32_e32 v3, v1
.LBB18_1103:
	s_or_b32 exec_lo, exec_lo, s3
	v_mov_b32_e32 v4, v7
.LBB18_1104:
	s_or_b32 exec_lo, exec_lo, s2
	s_waitcnt lgkmcnt(0)
	v_mov_b32_e32 v2, v6
	v_mov_b32_e32 v1, v3
	;; [unrolled: 1-line block ×3, first 2 shown]
.LBB18_1105:
	s_or_b32 exec_lo, exec_lo, s0
.LBB18_1106:
	s_or_b32 exec_lo, exec_lo, s1
.LBB18_1107:
	s_mov_b32 s0, exec_lo
                                        ; implicit-def: $vgpr4
                                        ; implicit-def: $vgpr6
	v_cmpx_eq_u32_e32 0, v0
	s_cbranch_execz .LBB18_1115
; %bb.1108:
	v_mov_b32_e32 v4, s25
	s_waitcnt lgkmcnt(1)
	v_mov_b32_e32 v3, s24
	s_waitcnt lgkmcnt(0)
	v_mov_b32_e32 v6, s26
	s_cmp_eq_u64 s[22:23], 0
	s_cbranch_scc1 .LBB18_1114
; %bb.1109:
	v_and_b32_e32 v0, 1, v5
	s_bitcmp1_b32 s26, 0
                                        ; implicit-def: $vgpr4
                                        ; implicit-def: $vgpr6
	s_cselect_b32 s1, -1, 0
	v_cmp_eq_u32_e32 vcc_lo, 1, v0
	s_and_b32 s2, s1, vcc_lo
	s_xor_b32 s2, s2, -1
	s_and_saveexec_b32 s3, s2
	s_xor_b32 s2, exec_lo, s3
; %bb.1110:
	v_cndmask_b32_e64 v6, v5, 1, s1
	v_cndmask_b32_e64 v3, v1, s24, s1
	;; [unrolled: 1-line block ×3, first 2 shown]
                                        ; implicit-def: $vgpr1
; %bb.1111:
	s_andn2_saveexec_b32 s1, s2
; %bb.1112:
	v_cmp_gt_f32_e32 vcc_lo, s24, v1
	v_mov_b32_e32 v6, 1
	v_cndmask_b32_e32 v3, s24, v1, vcc_lo
	v_cmp_lt_f32_e32 vcc_lo, s25, v2
	v_cndmask_b32_e32 v4, s25, v2, vcc_lo
; %bb.1113:
	s_or_b32 exec_lo, exec_lo, s1
.LBB18_1114:
	s_or_b32 s12, s12, exec_lo
.LBB18_1115:
	s_or_b32 exec_lo, exec_lo, s0
	s_and_saveexec_b32 s0, s12
	s_cbranch_execnz .LBB18_1033
	s_branch .LBB18_1034
	.section	.rodata,"a",@progbits
	.p2align	6, 0x0
	.amdhsa_kernel _ZN7rocprim17ROCPRIM_400000_NS6detail17trampoline_kernelINS0_14default_configENS1_22reduce_config_selectorIN6thrust23THRUST_200600_302600_NS5tupleIbffNS6_9null_typeES8_S8_S8_S8_S8_S8_EEEEZNS1_11reduce_implILb1ES3_PS9_SC_S9_12reduce_tupleIifEEE10hipError_tPvRmT1_T2_T3_mT4_P12ihipStream_tbEUlT_E1_NS1_11comp_targetILNS1_3genE8ELNS1_11target_archE1030ELNS1_3gpuE2ELNS1_3repE0EEENS1_30default_config_static_selectorELNS0_4arch9wavefront6targetE0EEEvSI_
		.amdhsa_group_segment_fixed_size 576
		.amdhsa_private_segment_fixed_size 0
		.amdhsa_kernarg_size 48
		.amdhsa_user_sgpr_count 6
		.amdhsa_user_sgpr_private_segment_buffer 1
		.amdhsa_user_sgpr_dispatch_ptr 0
		.amdhsa_user_sgpr_queue_ptr 0
		.amdhsa_user_sgpr_kernarg_segment_ptr 1
		.amdhsa_user_sgpr_dispatch_id 0
		.amdhsa_user_sgpr_flat_scratch_init 0
		.amdhsa_user_sgpr_private_segment_size 0
		.amdhsa_wavefront_size32 1
		.amdhsa_uses_dynamic_stack 0
		.amdhsa_system_sgpr_private_segment_wavefront_offset 0
		.amdhsa_system_sgpr_workgroup_id_x 1
		.amdhsa_system_sgpr_workgroup_id_y 0
		.amdhsa_system_sgpr_workgroup_id_z 0
		.amdhsa_system_sgpr_workgroup_info 0
		.amdhsa_system_vgpr_workitem_id 0
		.amdhsa_next_free_vgpr 51
		.amdhsa_next_free_sgpr 31
		.amdhsa_reserve_vcc 1
		.amdhsa_reserve_flat_scratch 0
		.amdhsa_float_round_mode_32 0
		.amdhsa_float_round_mode_16_64 0
		.amdhsa_float_denorm_mode_32 3
		.amdhsa_float_denorm_mode_16_64 3
		.amdhsa_dx10_clamp 1
		.amdhsa_ieee_mode 1
		.amdhsa_fp16_overflow 0
		.amdhsa_workgroup_processor_mode 1
		.amdhsa_memory_ordered 1
		.amdhsa_forward_progress 1
		.amdhsa_shared_vgpr_count 0
		.amdhsa_exception_fp_ieee_invalid_op 0
		.amdhsa_exception_fp_denorm_src 0
		.amdhsa_exception_fp_ieee_div_zero 0
		.amdhsa_exception_fp_ieee_overflow 0
		.amdhsa_exception_fp_ieee_underflow 0
		.amdhsa_exception_fp_ieee_inexact 0
		.amdhsa_exception_int_div_zero 0
	.end_amdhsa_kernel
	.section	.text._ZN7rocprim17ROCPRIM_400000_NS6detail17trampoline_kernelINS0_14default_configENS1_22reduce_config_selectorIN6thrust23THRUST_200600_302600_NS5tupleIbffNS6_9null_typeES8_S8_S8_S8_S8_S8_EEEEZNS1_11reduce_implILb1ES3_PS9_SC_S9_12reduce_tupleIifEEE10hipError_tPvRmT1_T2_T3_mT4_P12ihipStream_tbEUlT_E1_NS1_11comp_targetILNS1_3genE8ELNS1_11target_archE1030ELNS1_3gpuE2ELNS1_3repE0EEENS1_30default_config_static_selectorELNS0_4arch9wavefront6targetE0EEEvSI_,"axG",@progbits,_ZN7rocprim17ROCPRIM_400000_NS6detail17trampoline_kernelINS0_14default_configENS1_22reduce_config_selectorIN6thrust23THRUST_200600_302600_NS5tupleIbffNS6_9null_typeES8_S8_S8_S8_S8_S8_EEEEZNS1_11reduce_implILb1ES3_PS9_SC_S9_12reduce_tupleIifEEE10hipError_tPvRmT1_T2_T3_mT4_P12ihipStream_tbEUlT_E1_NS1_11comp_targetILNS1_3genE8ELNS1_11target_archE1030ELNS1_3gpuE2ELNS1_3repE0EEENS1_30default_config_static_selectorELNS0_4arch9wavefront6targetE0EEEvSI_,comdat
.Lfunc_end18:
	.size	_ZN7rocprim17ROCPRIM_400000_NS6detail17trampoline_kernelINS0_14default_configENS1_22reduce_config_selectorIN6thrust23THRUST_200600_302600_NS5tupleIbffNS6_9null_typeES8_S8_S8_S8_S8_S8_EEEEZNS1_11reduce_implILb1ES3_PS9_SC_S9_12reduce_tupleIifEEE10hipError_tPvRmT1_T2_T3_mT4_P12ihipStream_tbEUlT_E1_NS1_11comp_targetILNS1_3genE8ELNS1_11target_archE1030ELNS1_3gpuE2ELNS1_3repE0EEENS1_30default_config_static_selectorELNS0_4arch9wavefront6targetE0EEEvSI_, .Lfunc_end18-_ZN7rocprim17ROCPRIM_400000_NS6detail17trampoline_kernelINS0_14default_configENS1_22reduce_config_selectorIN6thrust23THRUST_200600_302600_NS5tupleIbffNS6_9null_typeES8_S8_S8_S8_S8_S8_EEEEZNS1_11reduce_implILb1ES3_PS9_SC_S9_12reduce_tupleIifEEE10hipError_tPvRmT1_T2_T3_mT4_P12ihipStream_tbEUlT_E1_NS1_11comp_targetILNS1_3genE8ELNS1_11target_archE1030ELNS1_3gpuE2ELNS1_3repE0EEENS1_30default_config_static_selectorELNS0_4arch9wavefront6targetE0EEEvSI_
                                        ; -- End function
	.set _ZN7rocprim17ROCPRIM_400000_NS6detail17trampoline_kernelINS0_14default_configENS1_22reduce_config_selectorIN6thrust23THRUST_200600_302600_NS5tupleIbffNS6_9null_typeES8_S8_S8_S8_S8_S8_EEEEZNS1_11reduce_implILb1ES3_PS9_SC_S9_12reduce_tupleIifEEE10hipError_tPvRmT1_T2_T3_mT4_P12ihipStream_tbEUlT_E1_NS1_11comp_targetILNS1_3genE8ELNS1_11target_archE1030ELNS1_3gpuE2ELNS1_3repE0EEENS1_30default_config_static_selectorELNS0_4arch9wavefront6targetE0EEEvSI_.num_vgpr, 51
	.set _ZN7rocprim17ROCPRIM_400000_NS6detail17trampoline_kernelINS0_14default_configENS1_22reduce_config_selectorIN6thrust23THRUST_200600_302600_NS5tupleIbffNS6_9null_typeES8_S8_S8_S8_S8_S8_EEEEZNS1_11reduce_implILb1ES3_PS9_SC_S9_12reduce_tupleIifEEE10hipError_tPvRmT1_T2_T3_mT4_P12ihipStream_tbEUlT_E1_NS1_11comp_targetILNS1_3genE8ELNS1_11target_archE1030ELNS1_3gpuE2ELNS1_3repE0EEENS1_30default_config_static_selectorELNS0_4arch9wavefront6targetE0EEEvSI_.num_agpr, 0
	.set _ZN7rocprim17ROCPRIM_400000_NS6detail17trampoline_kernelINS0_14default_configENS1_22reduce_config_selectorIN6thrust23THRUST_200600_302600_NS5tupleIbffNS6_9null_typeES8_S8_S8_S8_S8_S8_EEEEZNS1_11reduce_implILb1ES3_PS9_SC_S9_12reduce_tupleIifEEE10hipError_tPvRmT1_T2_T3_mT4_P12ihipStream_tbEUlT_E1_NS1_11comp_targetILNS1_3genE8ELNS1_11target_archE1030ELNS1_3gpuE2ELNS1_3repE0EEENS1_30default_config_static_selectorELNS0_4arch9wavefront6targetE0EEEvSI_.numbered_sgpr, 31
	.set _ZN7rocprim17ROCPRIM_400000_NS6detail17trampoline_kernelINS0_14default_configENS1_22reduce_config_selectorIN6thrust23THRUST_200600_302600_NS5tupleIbffNS6_9null_typeES8_S8_S8_S8_S8_S8_EEEEZNS1_11reduce_implILb1ES3_PS9_SC_S9_12reduce_tupleIifEEE10hipError_tPvRmT1_T2_T3_mT4_P12ihipStream_tbEUlT_E1_NS1_11comp_targetILNS1_3genE8ELNS1_11target_archE1030ELNS1_3gpuE2ELNS1_3repE0EEENS1_30default_config_static_selectorELNS0_4arch9wavefront6targetE0EEEvSI_.num_named_barrier, 0
	.set _ZN7rocprim17ROCPRIM_400000_NS6detail17trampoline_kernelINS0_14default_configENS1_22reduce_config_selectorIN6thrust23THRUST_200600_302600_NS5tupleIbffNS6_9null_typeES8_S8_S8_S8_S8_S8_EEEEZNS1_11reduce_implILb1ES3_PS9_SC_S9_12reduce_tupleIifEEE10hipError_tPvRmT1_T2_T3_mT4_P12ihipStream_tbEUlT_E1_NS1_11comp_targetILNS1_3genE8ELNS1_11target_archE1030ELNS1_3gpuE2ELNS1_3repE0EEENS1_30default_config_static_selectorELNS0_4arch9wavefront6targetE0EEEvSI_.private_seg_size, 0
	.set _ZN7rocprim17ROCPRIM_400000_NS6detail17trampoline_kernelINS0_14default_configENS1_22reduce_config_selectorIN6thrust23THRUST_200600_302600_NS5tupleIbffNS6_9null_typeES8_S8_S8_S8_S8_S8_EEEEZNS1_11reduce_implILb1ES3_PS9_SC_S9_12reduce_tupleIifEEE10hipError_tPvRmT1_T2_T3_mT4_P12ihipStream_tbEUlT_E1_NS1_11comp_targetILNS1_3genE8ELNS1_11target_archE1030ELNS1_3gpuE2ELNS1_3repE0EEENS1_30default_config_static_selectorELNS0_4arch9wavefront6targetE0EEEvSI_.uses_vcc, 1
	.set _ZN7rocprim17ROCPRIM_400000_NS6detail17trampoline_kernelINS0_14default_configENS1_22reduce_config_selectorIN6thrust23THRUST_200600_302600_NS5tupleIbffNS6_9null_typeES8_S8_S8_S8_S8_S8_EEEEZNS1_11reduce_implILb1ES3_PS9_SC_S9_12reduce_tupleIifEEE10hipError_tPvRmT1_T2_T3_mT4_P12ihipStream_tbEUlT_E1_NS1_11comp_targetILNS1_3genE8ELNS1_11target_archE1030ELNS1_3gpuE2ELNS1_3repE0EEENS1_30default_config_static_selectorELNS0_4arch9wavefront6targetE0EEEvSI_.uses_flat_scratch, 0
	.set _ZN7rocprim17ROCPRIM_400000_NS6detail17trampoline_kernelINS0_14default_configENS1_22reduce_config_selectorIN6thrust23THRUST_200600_302600_NS5tupleIbffNS6_9null_typeES8_S8_S8_S8_S8_S8_EEEEZNS1_11reduce_implILb1ES3_PS9_SC_S9_12reduce_tupleIifEEE10hipError_tPvRmT1_T2_T3_mT4_P12ihipStream_tbEUlT_E1_NS1_11comp_targetILNS1_3genE8ELNS1_11target_archE1030ELNS1_3gpuE2ELNS1_3repE0EEENS1_30default_config_static_selectorELNS0_4arch9wavefront6targetE0EEEvSI_.has_dyn_sized_stack, 0
	.set _ZN7rocprim17ROCPRIM_400000_NS6detail17trampoline_kernelINS0_14default_configENS1_22reduce_config_selectorIN6thrust23THRUST_200600_302600_NS5tupleIbffNS6_9null_typeES8_S8_S8_S8_S8_S8_EEEEZNS1_11reduce_implILb1ES3_PS9_SC_S9_12reduce_tupleIifEEE10hipError_tPvRmT1_T2_T3_mT4_P12ihipStream_tbEUlT_E1_NS1_11comp_targetILNS1_3genE8ELNS1_11target_archE1030ELNS1_3gpuE2ELNS1_3repE0EEENS1_30default_config_static_selectorELNS0_4arch9wavefront6targetE0EEEvSI_.has_recursion, 0
	.set _ZN7rocprim17ROCPRIM_400000_NS6detail17trampoline_kernelINS0_14default_configENS1_22reduce_config_selectorIN6thrust23THRUST_200600_302600_NS5tupleIbffNS6_9null_typeES8_S8_S8_S8_S8_S8_EEEEZNS1_11reduce_implILb1ES3_PS9_SC_S9_12reduce_tupleIifEEE10hipError_tPvRmT1_T2_T3_mT4_P12ihipStream_tbEUlT_E1_NS1_11comp_targetILNS1_3genE8ELNS1_11target_archE1030ELNS1_3gpuE2ELNS1_3repE0EEENS1_30default_config_static_selectorELNS0_4arch9wavefront6targetE0EEEvSI_.has_indirect_call, 0
	.section	.AMDGPU.csdata,"",@progbits
; Kernel info:
; codeLenInByte = 26304
; TotalNumSgprs: 33
; NumVgprs: 51
; ScratchSize: 0
; MemoryBound: 0
; FloatMode: 240
; IeeeMode: 1
; LDSByteSize: 576 bytes/workgroup (compile time only)
; SGPRBlocks: 0
; VGPRBlocks: 6
; NumSGPRsForWavesPerEU: 33
; NumVGPRsForWavesPerEU: 51
; Occupancy: 16
; WaveLimiterHint : 1
; COMPUTE_PGM_RSRC2:SCRATCH_EN: 0
; COMPUTE_PGM_RSRC2:USER_SGPR: 6
; COMPUTE_PGM_RSRC2:TRAP_HANDLER: 0
; COMPUTE_PGM_RSRC2:TGID_X_EN: 1
; COMPUTE_PGM_RSRC2:TGID_Y_EN: 0
; COMPUTE_PGM_RSRC2:TGID_Z_EN: 0
; COMPUTE_PGM_RSRC2:TIDIG_COMP_CNT: 0
	.section	.text._ZN7rocprim17ROCPRIM_400000_NS6detail17trampoline_kernelINS0_14default_configENS1_22reduce_config_selectorIN6thrust23THRUST_200600_302600_NS5tupleIbffNS6_9null_typeES8_S8_S8_S8_S8_S8_EEEEZNS1_11reduce_implILb1ES3_NS6_11hip_rocprim26transform_input_iterator_tIS9_NS6_12zip_iteratorINS7_INS6_17counting_iteratorIiNS6_11use_defaultESG_SG_EENS6_6detail15normal_iteratorINS6_10device_ptrIfEEEES8_S8_S8_S8_S8_S8_S8_S8_EEEE15transform_tupleIifEEEPS9_S9_12reduce_tupleIifEEE10hipError_tPvRmT1_T2_T3_mT4_P12ihipStream_tbEUlT_E0_NS1_11comp_targetILNS1_3genE0ELNS1_11target_archE4294967295ELNS1_3gpuE0ELNS1_3repE0EEENS1_30default_config_static_selectorELNS0_4arch9wavefront6targetE0EEEvSY_,"axG",@progbits,_ZN7rocprim17ROCPRIM_400000_NS6detail17trampoline_kernelINS0_14default_configENS1_22reduce_config_selectorIN6thrust23THRUST_200600_302600_NS5tupleIbffNS6_9null_typeES8_S8_S8_S8_S8_S8_EEEEZNS1_11reduce_implILb1ES3_NS6_11hip_rocprim26transform_input_iterator_tIS9_NS6_12zip_iteratorINS7_INS6_17counting_iteratorIiNS6_11use_defaultESG_SG_EENS6_6detail15normal_iteratorINS6_10device_ptrIfEEEES8_S8_S8_S8_S8_S8_S8_S8_EEEE15transform_tupleIifEEEPS9_S9_12reduce_tupleIifEEE10hipError_tPvRmT1_T2_T3_mT4_P12ihipStream_tbEUlT_E0_NS1_11comp_targetILNS1_3genE0ELNS1_11target_archE4294967295ELNS1_3gpuE0ELNS1_3repE0EEENS1_30default_config_static_selectorELNS0_4arch9wavefront6targetE0EEEvSY_,comdat
	.protected	_ZN7rocprim17ROCPRIM_400000_NS6detail17trampoline_kernelINS0_14default_configENS1_22reduce_config_selectorIN6thrust23THRUST_200600_302600_NS5tupleIbffNS6_9null_typeES8_S8_S8_S8_S8_S8_EEEEZNS1_11reduce_implILb1ES3_NS6_11hip_rocprim26transform_input_iterator_tIS9_NS6_12zip_iteratorINS7_INS6_17counting_iteratorIiNS6_11use_defaultESG_SG_EENS6_6detail15normal_iteratorINS6_10device_ptrIfEEEES8_S8_S8_S8_S8_S8_S8_S8_EEEE15transform_tupleIifEEEPS9_S9_12reduce_tupleIifEEE10hipError_tPvRmT1_T2_T3_mT4_P12ihipStream_tbEUlT_E0_NS1_11comp_targetILNS1_3genE0ELNS1_11target_archE4294967295ELNS1_3gpuE0ELNS1_3repE0EEENS1_30default_config_static_selectorELNS0_4arch9wavefront6targetE0EEEvSY_ ; -- Begin function _ZN7rocprim17ROCPRIM_400000_NS6detail17trampoline_kernelINS0_14default_configENS1_22reduce_config_selectorIN6thrust23THRUST_200600_302600_NS5tupleIbffNS6_9null_typeES8_S8_S8_S8_S8_S8_EEEEZNS1_11reduce_implILb1ES3_NS6_11hip_rocprim26transform_input_iterator_tIS9_NS6_12zip_iteratorINS7_INS6_17counting_iteratorIiNS6_11use_defaultESG_SG_EENS6_6detail15normal_iteratorINS6_10device_ptrIfEEEES8_S8_S8_S8_S8_S8_S8_S8_EEEE15transform_tupleIifEEEPS9_S9_12reduce_tupleIifEEE10hipError_tPvRmT1_T2_T3_mT4_P12ihipStream_tbEUlT_E0_NS1_11comp_targetILNS1_3genE0ELNS1_11target_archE4294967295ELNS1_3gpuE0ELNS1_3repE0EEENS1_30default_config_static_selectorELNS0_4arch9wavefront6targetE0EEEvSY_
	.globl	_ZN7rocprim17ROCPRIM_400000_NS6detail17trampoline_kernelINS0_14default_configENS1_22reduce_config_selectorIN6thrust23THRUST_200600_302600_NS5tupleIbffNS6_9null_typeES8_S8_S8_S8_S8_S8_EEEEZNS1_11reduce_implILb1ES3_NS6_11hip_rocprim26transform_input_iterator_tIS9_NS6_12zip_iteratorINS7_INS6_17counting_iteratorIiNS6_11use_defaultESG_SG_EENS6_6detail15normal_iteratorINS6_10device_ptrIfEEEES8_S8_S8_S8_S8_S8_S8_S8_EEEE15transform_tupleIifEEEPS9_S9_12reduce_tupleIifEEE10hipError_tPvRmT1_T2_T3_mT4_P12ihipStream_tbEUlT_E0_NS1_11comp_targetILNS1_3genE0ELNS1_11target_archE4294967295ELNS1_3gpuE0ELNS1_3repE0EEENS1_30default_config_static_selectorELNS0_4arch9wavefront6targetE0EEEvSY_
	.p2align	8
	.type	_ZN7rocprim17ROCPRIM_400000_NS6detail17trampoline_kernelINS0_14default_configENS1_22reduce_config_selectorIN6thrust23THRUST_200600_302600_NS5tupleIbffNS6_9null_typeES8_S8_S8_S8_S8_S8_EEEEZNS1_11reduce_implILb1ES3_NS6_11hip_rocprim26transform_input_iterator_tIS9_NS6_12zip_iteratorINS7_INS6_17counting_iteratorIiNS6_11use_defaultESG_SG_EENS6_6detail15normal_iteratorINS6_10device_ptrIfEEEES8_S8_S8_S8_S8_S8_S8_S8_EEEE15transform_tupleIifEEEPS9_S9_12reduce_tupleIifEEE10hipError_tPvRmT1_T2_T3_mT4_P12ihipStream_tbEUlT_E0_NS1_11comp_targetILNS1_3genE0ELNS1_11target_archE4294967295ELNS1_3gpuE0ELNS1_3repE0EEENS1_30default_config_static_selectorELNS0_4arch9wavefront6targetE0EEEvSY_,@function
_ZN7rocprim17ROCPRIM_400000_NS6detail17trampoline_kernelINS0_14default_configENS1_22reduce_config_selectorIN6thrust23THRUST_200600_302600_NS5tupleIbffNS6_9null_typeES8_S8_S8_S8_S8_S8_EEEEZNS1_11reduce_implILb1ES3_NS6_11hip_rocprim26transform_input_iterator_tIS9_NS6_12zip_iteratorINS7_INS6_17counting_iteratorIiNS6_11use_defaultESG_SG_EENS6_6detail15normal_iteratorINS6_10device_ptrIfEEEES8_S8_S8_S8_S8_S8_S8_S8_EEEE15transform_tupleIifEEEPS9_S9_12reduce_tupleIifEEE10hipError_tPvRmT1_T2_T3_mT4_P12ihipStream_tbEUlT_E0_NS1_11comp_targetILNS1_3genE0ELNS1_11target_archE4294967295ELNS1_3gpuE0ELNS1_3repE0EEENS1_30default_config_static_selectorELNS0_4arch9wavefront6targetE0EEEvSY_: ; @_ZN7rocprim17ROCPRIM_400000_NS6detail17trampoline_kernelINS0_14default_configENS1_22reduce_config_selectorIN6thrust23THRUST_200600_302600_NS5tupleIbffNS6_9null_typeES8_S8_S8_S8_S8_S8_EEEEZNS1_11reduce_implILb1ES3_NS6_11hip_rocprim26transform_input_iterator_tIS9_NS6_12zip_iteratorINS7_INS6_17counting_iteratorIiNS6_11use_defaultESG_SG_EENS6_6detail15normal_iteratorINS6_10device_ptrIfEEEES8_S8_S8_S8_S8_S8_S8_S8_EEEE15transform_tupleIifEEEPS9_S9_12reduce_tupleIifEEE10hipError_tPvRmT1_T2_T3_mT4_P12ihipStream_tbEUlT_E0_NS1_11comp_targetILNS1_3genE0ELNS1_11target_archE4294967295ELNS1_3gpuE0ELNS1_3repE0EEENS1_30default_config_static_selectorELNS0_4arch9wavefront6targetE0EEEvSY_
; %bb.0:
	.section	.rodata,"a",@progbits
	.p2align	6, 0x0
	.amdhsa_kernel _ZN7rocprim17ROCPRIM_400000_NS6detail17trampoline_kernelINS0_14default_configENS1_22reduce_config_selectorIN6thrust23THRUST_200600_302600_NS5tupleIbffNS6_9null_typeES8_S8_S8_S8_S8_S8_EEEEZNS1_11reduce_implILb1ES3_NS6_11hip_rocprim26transform_input_iterator_tIS9_NS6_12zip_iteratorINS7_INS6_17counting_iteratorIiNS6_11use_defaultESG_SG_EENS6_6detail15normal_iteratorINS6_10device_ptrIfEEEES8_S8_S8_S8_S8_S8_S8_S8_EEEE15transform_tupleIifEEEPS9_S9_12reduce_tupleIifEEE10hipError_tPvRmT1_T2_T3_mT4_P12ihipStream_tbEUlT_E0_NS1_11comp_targetILNS1_3genE0ELNS1_11target_archE4294967295ELNS1_3gpuE0ELNS1_3repE0EEENS1_30default_config_static_selectorELNS0_4arch9wavefront6targetE0EEEvSY_
		.amdhsa_group_segment_fixed_size 0
		.amdhsa_private_segment_fixed_size 0
		.amdhsa_kernarg_size 80
		.amdhsa_user_sgpr_count 6
		.amdhsa_user_sgpr_private_segment_buffer 1
		.amdhsa_user_sgpr_dispatch_ptr 0
		.amdhsa_user_sgpr_queue_ptr 0
		.amdhsa_user_sgpr_kernarg_segment_ptr 1
		.amdhsa_user_sgpr_dispatch_id 0
		.amdhsa_user_sgpr_flat_scratch_init 0
		.amdhsa_user_sgpr_private_segment_size 0
		.amdhsa_wavefront_size32 1
		.amdhsa_uses_dynamic_stack 0
		.amdhsa_system_sgpr_private_segment_wavefront_offset 0
		.amdhsa_system_sgpr_workgroup_id_x 1
		.amdhsa_system_sgpr_workgroup_id_y 0
		.amdhsa_system_sgpr_workgroup_id_z 0
		.amdhsa_system_sgpr_workgroup_info 0
		.amdhsa_system_vgpr_workitem_id 0
		.amdhsa_next_free_vgpr 1
		.amdhsa_next_free_sgpr 1
		.amdhsa_reserve_vcc 0
		.amdhsa_reserve_flat_scratch 0
		.amdhsa_float_round_mode_32 0
		.amdhsa_float_round_mode_16_64 0
		.amdhsa_float_denorm_mode_32 3
		.amdhsa_float_denorm_mode_16_64 3
		.amdhsa_dx10_clamp 1
		.amdhsa_ieee_mode 1
		.amdhsa_fp16_overflow 0
		.amdhsa_workgroup_processor_mode 1
		.amdhsa_memory_ordered 1
		.amdhsa_forward_progress 1
		.amdhsa_shared_vgpr_count 0
		.amdhsa_exception_fp_ieee_invalid_op 0
		.amdhsa_exception_fp_denorm_src 0
		.amdhsa_exception_fp_ieee_div_zero 0
		.amdhsa_exception_fp_ieee_overflow 0
		.amdhsa_exception_fp_ieee_underflow 0
		.amdhsa_exception_fp_ieee_inexact 0
		.amdhsa_exception_int_div_zero 0
	.end_amdhsa_kernel
	.section	.text._ZN7rocprim17ROCPRIM_400000_NS6detail17trampoline_kernelINS0_14default_configENS1_22reduce_config_selectorIN6thrust23THRUST_200600_302600_NS5tupleIbffNS6_9null_typeES8_S8_S8_S8_S8_S8_EEEEZNS1_11reduce_implILb1ES3_NS6_11hip_rocprim26transform_input_iterator_tIS9_NS6_12zip_iteratorINS7_INS6_17counting_iteratorIiNS6_11use_defaultESG_SG_EENS6_6detail15normal_iteratorINS6_10device_ptrIfEEEES8_S8_S8_S8_S8_S8_S8_S8_EEEE15transform_tupleIifEEEPS9_S9_12reduce_tupleIifEEE10hipError_tPvRmT1_T2_T3_mT4_P12ihipStream_tbEUlT_E0_NS1_11comp_targetILNS1_3genE0ELNS1_11target_archE4294967295ELNS1_3gpuE0ELNS1_3repE0EEENS1_30default_config_static_selectorELNS0_4arch9wavefront6targetE0EEEvSY_,"axG",@progbits,_ZN7rocprim17ROCPRIM_400000_NS6detail17trampoline_kernelINS0_14default_configENS1_22reduce_config_selectorIN6thrust23THRUST_200600_302600_NS5tupleIbffNS6_9null_typeES8_S8_S8_S8_S8_S8_EEEEZNS1_11reduce_implILb1ES3_NS6_11hip_rocprim26transform_input_iterator_tIS9_NS6_12zip_iteratorINS7_INS6_17counting_iteratorIiNS6_11use_defaultESG_SG_EENS6_6detail15normal_iteratorINS6_10device_ptrIfEEEES8_S8_S8_S8_S8_S8_S8_S8_EEEE15transform_tupleIifEEEPS9_S9_12reduce_tupleIifEEE10hipError_tPvRmT1_T2_T3_mT4_P12ihipStream_tbEUlT_E0_NS1_11comp_targetILNS1_3genE0ELNS1_11target_archE4294967295ELNS1_3gpuE0ELNS1_3repE0EEENS1_30default_config_static_selectorELNS0_4arch9wavefront6targetE0EEEvSY_,comdat
.Lfunc_end19:
	.size	_ZN7rocprim17ROCPRIM_400000_NS6detail17trampoline_kernelINS0_14default_configENS1_22reduce_config_selectorIN6thrust23THRUST_200600_302600_NS5tupleIbffNS6_9null_typeES8_S8_S8_S8_S8_S8_EEEEZNS1_11reduce_implILb1ES3_NS6_11hip_rocprim26transform_input_iterator_tIS9_NS6_12zip_iteratorINS7_INS6_17counting_iteratorIiNS6_11use_defaultESG_SG_EENS6_6detail15normal_iteratorINS6_10device_ptrIfEEEES8_S8_S8_S8_S8_S8_S8_S8_EEEE15transform_tupleIifEEEPS9_S9_12reduce_tupleIifEEE10hipError_tPvRmT1_T2_T3_mT4_P12ihipStream_tbEUlT_E0_NS1_11comp_targetILNS1_3genE0ELNS1_11target_archE4294967295ELNS1_3gpuE0ELNS1_3repE0EEENS1_30default_config_static_selectorELNS0_4arch9wavefront6targetE0EEEvSY_, .Lfunc_end19-_ZN7rocprim17ROCPRIM_400000_NS6detail17trampoline_kernelINS0_14default_configENS1_22reduce_config_selectorIN6thrust23THRUST_200600_302600_NS5tupleIbffNS6_9null_typeES8_S8_S8_S8_S8_S8_EEEEZNS1_11reduce_implILb1ES3_NS6_11hip_rocprim26transform_input_iterator_tIS9_NS6_12zip_iteratorINS7_INS6_17counting_iteratorIiNS6_11use_defaultESG_SG_EENS6_6detail15normal_iteratorINS6_10device_ptrIfEEEES8_S8_S8_S8_S8_S8_S8_S8_EEEE15transform_tupleIifEEEPS9_S9_12reduce_tupleIifEEE10hipError_tPvRmT1_T2_T3_mT4_P12ihipStream_tbEUlT_E0_NS1_11comp_targetILNS1_3genE0ELNS1_11target_archE4294967295ELNS1_3gpuE0ELNS1_3repE0EEENS1_30default_config_static_selectorELNS0_4arch9wavefront6targetE0EEEvSY_
                                        ; -- End function
	.set _ZN7rocprim17ROCPRIM_400000_NS6detail17trampoline_kernelINS0_14default_configENS1_22reduce_config_selectorIN6thrust23THRUST_200600_302600_NS5tupleIbffNS6_9null_typeES8_S8_S8_S8_S8_S8_EEEEZNS1_11reduce_implILb1ES3_NS6_11hip_rocprim26transform_input_iterator_tIS9_NS6_12zip_iteratorINS7_INS6_17counting_iteratorIiNS6_11use_defaultESG_SG_EENS6_6detail15normal_iteratorINS6_10device_ptrIfEEEES8_S8_S8_S8_S8_S8_S8_S8_EEEE15transform_tupleIifEEEPS9_S9_12reduce_tupleIifEEE10hipError_tPvRmT1_T2_T3_mT4_P12ihipStream_tbEUlT_E0_NS1_11comp_targetILNS1_3genE0ELNS1_11target_archE4294967295ELNS1_3gpuE0ELNS1_3repE0EEENS1_30default_config_static_selectorELNS0_4arch9wavefront6targetE0EEEvSY_.num_vgpr, 0
	.set _ZN7rocprim17ROCPRIM_400000_NS6detail17trampoline_kernelINS0_14default_configENS1_22reduce_config_selectorIN6thrust23THRUST_200600_302600_NS5tupleIbffNS6_9null_typeES8_S8_S8_S8_S8_S8_EEEEZNS1_11reduce_implILb1ES3_NS6_11hip_rocprim26transform_input_iterator_tIS9_NS6_12zip_iteratorINS7_INS6_17counting_iteratorIiNS6_11use_defaultESG_SG_EENS6_6detail15normal_iteratorINS6_10device_ptrIfEEEES8_S8_S8_S8_S8_S8_S8_S8_EEEE15transform_tupleIifEEEPS9_S9_12reduce_tupleIifEEE10hipError_tPvRmT1_T2_T3_mT4_P12ihipStream_tbEUlT_E0_NS1_11comp_targetILNS1_3genE0ELNS1_11target_archE4294967295ELNS1_3gpuE0ELNS1_3repE0EEENS1_30default_config_static_selectorELNS0_4arch9wavefront6targetE0EEEvSY_.num_agpr, 0
	.set _ZN7rocprim17ROCPRIM_400000_NS6detail17trampoline_kernelINS0_14default_configENS1_22reduce_config_selectorIN6thrust23THRUST_200600_302600_NS5tupleIbffNS6_9null_typeES8_S8_S8_S8_S8_S8_EEEEZNS1_11reduce_implILb1ES3_NS6_11hip_rocprim26transform_input_iterator_tIS9_NS6_12zip_iteratorINS7_INS6_17counting_iteratorIiNS6_11use_defaultESG_SG_EENS6_6detail15normal_iteratorINS6_10device_ptrIfEEEES8_S8_S8_S8_S8_S8_S8_S8_EEEE15transform_tupleIifEEEPS9_S9_12reduce_tupleIifEEE10hipError_tPvRmT1_T2_T3_mT4_P12ihipStream_tbEUlT_E0_NS1_11comp_targetILNS1_3genE0ELNS1_11target_archE4294967295ELNS1_3gpuE0ELNS1_3repE0EEENS1_30default_config_static_selectorELNS0_4arch9wavefront6targetE0EEEvSY_.numbered_sgpr, 0
	.set _ZN7rocprim17ROCPRIM_400000_NS6detail17trampoline_kernelINS0_14default_configENS1_22reduce_config_selectorIN6thrust23THRUST_200600_302600_NS5tupleIbffNS6_9null_typeES8_S8_S8_S8_S8_S8_EEEEZNS1_11reduce_implILb1ES3_NS6_11hip_rocprim26transform_input_iterator_tIS9_NS6_12zip_iteratorINS7_INS6_17counting_iteratorIiNS6_11use_defaultESG_SG_EENS6_6detail15normal_iteratorINS6_10device_ptrIfEEEES8_S8_S8_S8_S8_S8_S8_S8_EEEE15transform_tupleIifEEEPS9_S9_12reduce_tupleIifEEE10hipError_tPvRmT1_T2_T3_mT4_P12ihipStream_tbEUlT_E0_NS1_11comp_targetILNS1_3genE0ELNS1_11target_archE4294967295ELNS1_3gpuE0ELNS1_3repE0EEENS1_30default_config_static_selectorELNS0_4arch9wavefront6targetE0EEEvSY_.num_named_barrier, 0
	.set _ZN7rocprim17ROCPRIM_400000_NS6detail17trampoline_kernelINS0_14default_configENS1_22reduce_config_selectorIN6thrust23THRUST_200600_302600_NS5tupleIbffNS6_9null_typeES8_S8_S8_S8_S8_S8_EEEEZNS1_11reduce_implILb1ES3_NS6_11hip_rocprim26transform_input_iterator_tIS9_NS6_12zip_iteratorINS7_INS6_17counting_iteratorIiNS6_11use_defaultESG_SG_EENS6_6detail15normal_iteratorINS6_10device_ptrIfEEEES8_S8_S8_S8_S8_S8_S8_S8_EEEE15transform_tupleIifEEEPS9_S9_12reduce_tupleIifEEE10hipError_tPvRmT1_T2_T3_mT4_P12ihipStream_tbEUlT_E0_NS1_11comp_targetILNS1_3genE0ELNS1_11target_archE4294967295ELNS1_3gpuE0ELNS1_3repE0EEENS1_30default_config_static_selectorELNS0_4arch9wavefront6targetE0EEEvSY_.private_seg_size, 0
	.set _ZN7rocprim17ROCPRIM_400000_NS6detail17trampoline_kernelINS0_14default_configENS1_22reduce_config_selectorIN6thrust23THRUST_200600_302600_NS5tupleIbffNS6_9null_typeES8_S8_S8_S8_S8_S8_EEEEZNS1_11reduce_implILb1ES3_NS6_11hip_rocprim26transform_input_iterator_tIS9_NS6_12zip_iteratorINS7_INS6_17counting_iteratorIiNS6_11use_defaultESG_SG_EENS6_6detail15normal_iteratorINS6_10device_ptrIfEEEES8_S8_S8_S8_S8_S8_S8_S8_EEEE15transform_tupleIifEEEPS9_S9_12reduce_tupleIifEEE10hipError_tPvRmT1_T2_T3_mT4_P12ihipStream_tbEUlT_E0_NS1_11comp_targetILNS1_3genE0ELNS1_11target_archE4294967295ELNS1_3gpuE0ELNS1_3repE0EEENS1_30default_config_static_selectorELNS0_4arch9wavefront6targetE0EEEvSY_.uses_vcc, 0
	.set _ZN7rocprim17ROCPRIM_400000_NS6detail17trampoline_kernelINS0_14default_configENS1_22reduce_config_selectorIN6thrust23THRUST_200600_302600_NS5tupleIbffNS6_9null_typeES8_S8_S8_S8_S8_S8_EEEEZNS1_11reduce_implILb1ES3_NS6_11hip_rocprim26transform_input_iterator_tIS9_NS6_12zip_iteratorINS7_INS6_17counting_iteratorIiNS6_11use_defaultESG_SG_EENS6_6detail15normal_iteratorINS6_10device_ptrIfEEEES8_S8_S8_S8_S8_S8_S8_S8_EEEE15transform_tupleIifEEEPS9_S9_12reduce_tupleIifEEE10hipError_tPvRmT1_T2_T3_mT4_P12ihipStream_tbEUlT_E0_NS1_11comp_targetILNS1_3genE0ELNS1_11target_archE4294967295ELNS1_3gpuE0ELNS1_3repE0EEENS1_30default_config_static_selectorELNS0_4arch9wavefront6targetE0EEEvSY_.uses_flat_scratch, 0
	.set _ZN7rocprim17ROCPRIM_400000_NS6detail17trampoline_kernelINS0_14default_configENS1_22reduce_config_selectorIN6thrust23THRUST_200600_302600_NS5tupleIbffNS6_9null_typeES8_S8_S8_S8_S8_S8_EEEEZNS1_11reduce_implILb1ES3_NS6_11hip_rocprim26transform_input_iterator_tIS9_NS6_12zip_iteratorINS7_INS6_17counting_iteratorIiNS6_11use_defaultESG_SG_EENS6_6detail15normal_iteratorINS6_10device_ptrIfEEEES8_S8_S8_S8_S8_S8_S8_S8_EEEE15transform_tupleIifEEEPS9_S9_12reduce_tupleIifEEE10hipError_tPvRmT1_T2_T3_mT4_P12ihipStream_tbEUlT_E0_NS1_11comp_targetILNS1_3genE0ELNS1_11target_archE4294967295ELNS1_3gpuE0ELNS1_3repE0EEENS1_30default_config_static_selectorELNS0_4arch9wavefront6targetE0EEEvSY_.has_dyn_sized_stack, 0
	.set _ZN7rocprim17ROCPRIM_400000_NS6detail17trampoline_kernelINS0_14default_configENS1_22reduce_config_selectorIN6thrust23THRUST_200600_302600_NS5tupleIbffNS6_9null_typeES8_S8_S8_S8_S8_S8_EEEEZNS1_11reduce_implILb1ES3_NS6_11hip_rocprim26transform_input_iterator_tIS9_NS6_12zip_iteratorINS7_INS6_17counting_iteratorIiNS6_11use_defaultESG_SG_EENS6_6detail15normal_iteratorINS6_10device_ptrIfEEEES8_S8_S8_S8_S8_S8_S8_S8_EEEE15transform_tupleIifEEEPS9_S9_12reduce_tupleIifEEE10hipError_tPvRmT1_T2_T3_mT4_P12ihipStream_tbEUlT_E0_NS1_11comp_targetILNS1_3genE0ELNS1_11target_archE4294967295ELNS1_3gpuE0ELNS1_3repE0EEENS1_30default_config_static_selectorELNS0_4arch9wavefront6targetE0EEEvSY_.has_recursion, 0
	.set _ZN7rocprim17ROCPRIM_400000_NS6detail17trampoline_kernelINS0_14default_configENS1_22reduce_config_selectorIN6thrust23THRUST_200600_302600_NS5tupleIbffNS6_9null_typeES8_S8_S8_S8_S8_S8_EEEEZNS1_11reduce_implILb1ES3_NS6_11hip_rocprim26transform_input_iterator_tIS9_NS6_12zip_iteratorINS7_INS6_17counting_iteratorIiNS6_11use_defaultESG_SG_EENS6_6detail15normal_iteratorINS6_10device_ptrIfEEEES8_S8_S8_S8_S8_S8_S8_S8_EEEE15transform_tupleIifEEEPS9_S9_12reduce_tupleIifEEE10hipError_tPvRmT1_T2_T3_mT4_P12ihipStream_tbEUlT_E0_NS1_11comp_targetILNS1_3genE0ELNS1_11target_archE4294967295ELNS1_3gpuE0ELNS1_3repE0EEENS1_30default_config_static_selectorELNS0_4arch9wavefront6targetE0EEEvSY_.has_indirect_call, 0
	.section	.AMDGPU.csdata,"",@progbits
; Kernel info:
; codeLenInByte = 0
; TotalNumSgprs: 0
; NumVgprs: 0
; ScratchSize: 0
; MemoryBound: 0
; FloatMode: 240
; IeeeMode: 1
; LDSByteSize: 0 bytes/workgroup (compile time only)
; SGPRBlocks: 0
; VGPRBlocks: 0
; NumSGPRsForWavesPerEU: 1
; NumVGPRsForWavesPerEU: 1
; Occupancy: 16
; WaveLimiterHint : 0
; COMPUTE_PGM_RSRC2:SCRATCH_EN: 0
; COMPUTE_PGM_RSRC2:USER_SGPR: 6
; COMPUTE_PGM_RSRC2:TRAP_HANDLER: 0
; COMPUTE_PGM_RSRC2:TGID_X_EN: 1
; COMPUTE_PGM_RSRC2:TGID_Y_EN: 0
; COMPUTE_PGM_RSRC2:TGID_Z_EN: 0
; COMPUTE_PGM_RSRC2:TIDIG_COMP_CNT: 0
	.section	.text._ZN7rocprim17ROCPRIM_400000_NS6detail17trampoline_kernelINS0_14default_configENS1_22reduce_config_selectorIN6thrust23THRUST_200600_302600_NS5tupleIbffNS6_9null_typeES8_S8_S8_S8_S8_S8_EEEEZNS1_11reduce_implILb1ES3_NS6_11hip_rocprim26transform_input_iterator_tIS9_NS6_12zip_iteratorINS7_INS6_17counting_iteratorIiNS6_11use_defaultESG_SG_EENS6_6detail15normal_iteratorINS6_10device_ptrIfEEEES8_S8_S8_S8_S8_S8_S8_S8_EEEE15transform_tupleIifEEEPS9_S9_12reduce_tupleIifEEE10hipError_tPvRmT1_T2_T3_mT4_P12ihipStream_tbEUlT_E0_NS1_11comp_targetILNS1_3genE5ELNS1_11target_archE942ELNS1_3gpuE9ELNS1_3repE0EEENS1_30default_config_static_selectorELNS0_4arch9wavefront6targetE0EEEvSY_,"axG",@progbits,_ZN7rocprim17ROCPRIM_400000_NS6detail17trampoline_kernelINS0_14default_configENS1_22reduce_config_selectorIN6thrust23THRUST_200600_302600_NS5tupleIbffNS6_9null_typeES8_S8_S8_S8_S8_S8_EEEEZNS1_11reduce_implILb1ES3_NS6_11hip_rocprim26transform_input_iterator_tIS9_NS6_12zip_iteratorINS7_INS6_17counting_iteratorIiNS6_11use_defaultESG_SG_EENS6_6detail15normal_iteratorINS6_10device_ptrIfEEEES8_S8_S8_S8_S8_S8_S8_S8_EEEE15transform_tupleIifEEEPS9_S9_12reduce_tupleIifEEE10hipError_tPvRmT1_T2_T3_mT4_P12ihipStream_tbEUlT_E0_NS1_11comp_targetILNS1_3genE5ELNS1_11target_archE942ELNS1_3gpuE9ELNS1_3repE0EEENS1_30default_config_static_selectorELNS0_4arch9wavefront6targetE0EEEvSY_,comdat
	.protected	_ZN7rocprim17ROCPRIM_400000_NS6detail17trampoline_kernelINS0_14default_configENS1_22reduce_config_selectorIN6thrust23THRUST_200600_302600_NS5tupleIbffNS6_9null_typeES8_S8_S8_S8_S8_S8_EEEEZNS1_11reduce_implILb1ES3_NS6_11hip_rocprim26transform_input_iterator_tIS9_NS6_12zip_iteratorINS7_INS6_17counting_iteratorIiNS6_11use_defaultESG_SG_EENS6_6detail15normal_iteratorINS6_10device_ptrIfEEEES8_S8_S8_S8_S8_S8_S8_S8_EEEE15transform_tupleIifEEEPS9_S9_12reduce_tupleIifEEE10hipError_tPvRmT1_T2_T3_mT4_P12ihipStream_tbEUlT_E0_NS1_11comp_targetILNS1_3genE5ELNS1_11target_archE942ELNS1_3gpuE9ELNS1_3repE0EEENS1_30default_config_static_selectorELNS0_4arch9wavefront6targetE0EEEvSY_ ; -- Begin function _ZN7rocprim17ROCPRIM_400000_NS6detail17trampoline_kernelINS0_14default_configENS1_22reduce_config_selectorIN6thrust23THRUST_200600_302600_NS5tupleIbffNS6_9null_typeES8_S8_S8_S8_S8_S8_EEEEZNS1_11reduce_implILb1ES3_NS6_11hip_rocprim26transform_input_iterator_tIS9_NS6_12zip_iteratorINS7_INS6_17counting_iteratorIiNS6_11use_defaultESG_SG_EENS6_6detail15normal_iteratorINS6_10device_ptrIfEEEES8_S8_S8_S8_S8_S8_S8_S8_EEEE15transform_tupleIifEEEPS9_S9_12reduce_tupleIifEEE10hipError_tPvRmT1_T2_T3_mT4_P12ihipStream_tbEUlT_E0_NS1_11comp_targetILNS1_3genE5ELNS1_11target_archE942ELNS1_3gpuE9ELNS1_3repE0EEENS1_30default_config_static_selectorELNS0_4arch9wavefront6targetE0EEEvSY_
	.globl	_ZN7rocprim17ROCPRIM_400000_NS6detail17trampoline_kernelINS0_14default_configENS1_22reduce_config_selectorIN6thrust23THRUST_200600_302600_NS5tupleIbffNS6_9null_typeES8_S8_S8_S8_S8_S8_EEEEZNS1_11reduce_implILb1ES3_NS6_11hip_rocprim26transform_input_iterator_tIS9_NS6_12zip_iteratorINS7_INS6_17counting_iteratorIiNS6_11use_defaultESG_SG_EENS6_6detail15normal_iteratorINS6_10device_ptrIfEEEES8_S8_S8_S8_S8_S8_S8_S8_EEEE15transform_tupleIifEEEPS9_S9_12reduce_tupleIifEEE10hipError_tPvRmT1_T2_T3_mT4_P12ihipStream_tbEUlT_E0_NS1_11comp_targetILNS1_3genE5ELNS1_11target_archE942ELNS1_3gpuE9ELNS1_3repE0EEENS1_30default_config_static_selectorELNS0_4arch9wavefront6targetE0EEEvSY_
	.p2align	8
	.type	_ZN7rocprim17ROCPRIM_400000_NS6detail17trampoline_kernelINS0_14default_configENS1_22reduce_config_selectorIN6thrust23THRUST_200600_302600_NS5tupleIbffNS6_9null_typeES8_S8_S8_S8_S8_S8_EEEEZNS1_11reduce_implILb1ES3_NS6_11hip_rocprim26transform_input_iterator_tIS9_NS6_12zip_iteratorINS7_INS6_17counting_iteratorIiNS6_11use_defaultESG_SG_EENS6_6detail15normal_iteratorINS6_10device_ptrIfEEEES8_S8_S8_S8_S8_S8_S8_S8_EEEE15transform_tupleIifEEEPS9_S9_12reduce_tupleIifEEE10hipError_tPvRmT1_T2_T3_mT4_P12ihipStream_tbEUlT_E0_NS1_11comp_targetILNS1_3genE5ELNS1_11target_archE942ELNS1_3gpuE9ELNS1_3repE0EEENS1_30default_config_static_selectorELNS0_4arch9wavefront6targetE0EEEvSY_,@function
_ZN7rocprim17ROCPRIM_400000_NS6detail17trampoline_kernelINS0_14default_configENS1_22reduce_config_selectorIN6thrust23THRUST_200600_302600_NS5tupleIbffNS6_9null_typeES8_S8_S8_S8_S8_S8_EEEEZNS1_11reduce_implILb1ES3_NS6_11hip_rocprim26transform_input_iterator_tIS9_NS6_12zip_iteratorINS7_INS6_17counting_iteratorIiNS6_11use_defaultESG_SG_EENS6_6detail15normal_iteratorINS6_10device_ptrIfEEEES8_S8_S8_S8_S8_S8_S8_S8_EEEE15transform_tupleIifEEEPS9_S9_12reduce_tupleIifEEE10hipError_tPvRmT1_T2_T3_mT4_P12ihipStream_tbEUlT_E0_NS1_11comp_targetILNS1_3genE5ELNS1_11target_archE942ELNS1_3gpuE9ELNS1_3repE0EEENS1_30default_config_static_selectorELNS0_4arch9wavefront6targetE0EEEvSY_: ; @_ZN7rocprim17ROCPRIM_400000_NS6detail17trampoline_kernelINS0_14default_configENS1_22reduce_config_selectorIN6thrust23THRUST_200600_302600_NS5tupleIbffNS6_9null_typeES8_S8_S8_S8_S8_S8_EEEEZNS1_11reduce_implILb1ES3_NS6_11hip_rocprim26transform_input_iterator_tIS9_NS6_12zip_iteratorINS7_INS6_17counting_iteratorIiNS6_11use_defaultESG_SG_EENS6_6detail15normal_iteratorINS6_10device_ptrIfEEEES8_S8_S8_S8_S8_S8_S8_S8_EEEE15transform_tupleIifEEEPS9_S9_12reduce_tupleIifEEE10hipError_tPvRmT1_T2_T3_mT4_P12ihipStream_tbEUlT_E0_NS1_11comp_targetILNS1_3genE5ELNS1_11target_archE942ELNS1_3gpuE9ELNS1_3repE0EEENS1_30default_config_static_selectorELNS0_4arch9wavefront6targetE0EEEvSY_
; %bb.0:
	.section	.rodata,"a",@progbits
	.p2align	6, 0x0
	.amdhsa_kernel _ZN7rocprim17ROCPRIM_400000_NS6detail17trampoline_kernelINS0_14default_configENS1_22reduce_config_selectorIN6thrust23THRUST_200600_302600_NS5tupleIbffNS6_9null_typeES8_S8_S8_S8_S8_S8_EEEEZNS1_11reduce_implILb1ES3_NS6_11hip_rocprim26transform_input_iterator_tIS9_NS6_12zip_iteratorINS7_INS6_17counting_iteratorIiNS6_11use_defaultESG_SG_EENS6_6detail15normal_iteratorINS6_10device_ptrIfEEEES8_S8_S8_S8_S8_S8_S8_S8_EEEE15transform_tupleIifEEEPS9_S9_12reduce_tupleIifEEE10hipError_tPvRmT1_T2_T3_mT4_P12ihipStream_tbEUlT_E0_NS1_11comp_targetILNS1_3genE5ELNS1_11target_archE942ELNS1_3gpuE9ELNS1_3repE0EEENS1_30default_config_static_selectorELNS0_4arch9wavefront6targetE0EEEvSY_
		.amdhsa_group_segment_fixed_size 0
		.amdhsa_private_segment_fixed_size 0
		.amdhsa_kernarg_size 80
		.amdhsa_user_sgpr_count 6
		.amdhsa_user_sgpr_private_segment_buffer 1
		.amdhsa_user_sgpr_dispatch_ptr 0
		.amdhsa_user_sgpr_queue_ptr 0
		.amdhsa_user_sgpr_kernarg_segment_ptr 1
		.amdhsa_user_sgpr_dispatch_id 0
		.amdhsa_user_sgpr_flat_scratch_init 0
		.amdhsa_user_sgpr_private_segment_size 0
		.amdhsa_wavefront_size32 1
		.amdhsa_uses_dynamic_stack 0
		.amdhsa_system_sgpr_private_segment_wavefront_offset 0
		.amdhsa_system_sgpr_workgroup_id_x 1
		.amdhsa_system_sgpr_workgroup_id_y 0
		.amdhsa_system_sgpr_workgroup_id_z 0
		.amdhsa_system_sgpr_workgroup_info 0
		.amdhsa_system_vgpr_workitem_id 0
		.amdhsa_next_free_vgpr 1
		.amdhsa_next_free_sgpr 1
		.amdhsa_reserve_vcc 0
		.amdhsa_reserve_flat_scratch 0
		.amdhsa_float_round_mode_32 0
		.amdhsa_float_round_mode_16_64 0
		.amdhsa_float_denorm_mode_32 3
		.amdhsa_float_denorm_mode_16_64 3
		.amdhsa_dx10_clamp 1
		.amdhsa_ieee_mode 1
		.amdhsa_fp16_overflow 0
		.amdhsa_workgroup_processor_mode 1
		.amdhsa_memory_ordered 1
		.amdhsa_forward_progress 1
		.amdhsa_shared_vgpr_count 0
		.amdhsa_exception_fp_ieee_invalid_op 0
		.amdhsa_exception_fp_denorm_src 0
		.amdhsa_exception_fp_ieee_div_zero 0
		.amdhsa_exception_fp_ieee_overflow 0
		.amdhsa_exception_fp_ieee_underflow 0
		.amdhsa_exception_fp_ieee_inexact 0
		.amdhsa_exception_int_div_zero 0
	.end_amdhsa_kernel
	.section	.text._ZN7rocprim17ROCPRIM_400000_NS6detail17trampoline_kernelINS0_14default_configENS1_22reduce_config_selectorIN6thrust23THRUST_200600_302600_NS5tupleIbffNS6_9null_typeES8_S8_S8_S8_S8_S8_EEEEZNS1_11reduce_implILb1ES3_NS6_11hip_rocprim26transform_input_iterator_tIS9_NS6_12zip_iteratorINS7_INS6_17counting_iteratorIiNS6_11use_defaultESG_SG_EENS6_6detail15normal_iteratorINS6_10device_ptrIfEEEES8_S8_S8_S8_S8_S8_S8_S8_EEEE15transform_tupleIifEEEPS9_S9_12reduce_tupleIifEEE10hipError_tPvRmT1_T2_T3_mT4_P12ihipStream_tbEUlT_E0_NS1_11comp_targetILNS1_3genE5ELNS1_11target_archE942ELNS1_3gpuE9ELNS1_3repE0EEENS1_30default_config_static_selectorELNS0_4arch9wavefront6targetE0EEEvSY_,"axG",@progbits,_ZN7rocprim17ROCPRIM_400000_NS6detail17trampoline_kernelINS0_14default_configENS1_22reduce_config_selectorIN6thrust23THRUST_200600_302600_NS5tupleIbffNS6_9null_typeES8_S8_S8_S8_S8_S8_EEEEZNS1_11reduce_implILb1ES3_NS6_11hip_rocprim26transform_input_iterator_tIS9_NS6_12zip_iteratorINS7_INS6_17counting_iteratorIiNS6_11use_defaultESG_SG_EENS6_6detail15normal_iteratorINS6_10device_ptrIfEEEES8_S8_S8_S8_S8_S8_S8_S8_EEEE15transform_tupleIifEEEPS9_S9_12reduce_tupleIifEEE10hipError_tPvRmT1_T2_T3_mT4_P12ihipStream_tbEUlT_E0_NS1_11comp_targetILNS1_3genE5ELNS1_11target_archE942ELNS1_3gpuE9ELNS1_3repE0EEENS1_30default_config_static_selectorELNS0_4arch9wavefront6targetE0EEEvSY_,comdat
.Lfunc_end20:
	.size	_ZN7rocprim17ROCPRIM_400000_NS6detail17trampoline_kernelINS0_14default_configENS1_22reduce_config_selectorIN6thrust23THRUST_200600_302600_NS5tupleIbffNS6_9null_typeES8_S8_S8_S8_S8_S8_EEEEZNS1_11reduce_implILb1ES3_NS6_11hip_rocprim26transform_input_iterator_tIS9_NS6_12zip_iteratorINS7_INS6_17counting_iteratorIiNS6_11use_defaultESG_SG_EENS6_6detail15normal_iteratorINS6_10device_ptrIfEEEES8_S8_S8_S8_S8_S8_S8_S8_EEEE15transform_tupleIifEEEPS9_S9_12reduce_tupleIifEEE10hipError_tPvRmT1_T2_T3_mT4_P12ihipStream_tbEUlT_E0_NS1_11comp_targetILNS1_3genE5ELNS1_11target_archE942ELNS1_3gpuE9ELNS1_3repE0EEENS1_30default_config_static_selectorELNS0_4arch9wavefront6targetE0EEEvSY_, .Lfunc_end20-_ZN7rocprim17ROCPRIM_400000_NS6detail17trampoline_kernelINS0_14default_configENS1_22reduce_config_selectorIN6thrust23THRUST_200600_302600_NS5tupleIbffNS6_9null_typeES8_S8_S8_S8_S8_S8_EEEEZNS1_11reduce_implILb1ES3_NS6_11hip_rocprim26transform_input_iterator_tIS9_NS6_12zip_iteratorINS7_INS6_17counting_iteratorIiNS6_11use_defaultESG_SG_EENS6_6detail15normal_iteratorINS6_10device_ptrIfEEEES8_S8_S8_S8_S8_S8_S8_S8_EEEE15transform_tupleIifEEEPS9_S9_12reduce_tupleIifEEE10hipError_tPvRmT1_T2_T3_mT4_P12ihipStream_tbEUlT_E0_NS1_11comp_targetILNS1_3genE5ELNS1_11target_archE942ELNS1_3gpuE9ELNS1_3repE0EEENS1_30default_config_static_selectorELNS0_4arch9wavefront6targetE0EEEvSY_
                                        ; -- End function
	.set _ZN7rocprim17ROCPRIM_400000_NS6detail17trampoline_kernelINS0_14default_configENS1_22reduce_config_selectorIN6thrust23THRUST_200600_302600_NS5tupleIbffNS6_9null_typeES8_S8_S8_S8_S8_S8_EEEEZNS1_11reduce_implILb1ES3_NS6_11hip_rocprim26transform_input_iterator_tIS9_NS6_12zip_iteratorINS7_INS6_17counting_iteratorIiNS6_11use_defaultESG_SG_EENS6_6detail15normal_iteratorINS6_10device_ptrIfEEEES8_S8_S8_S8_S8_S8_S8_S8_EEEE15transform_tupleIifEEEPS9_S9_12reduce_tupleIifEEE10hipError_tPvRmT1_T2_T3_mT4_P12ihipStream_tbEUlT_E0_NS1_11comp_targetILNS1_3genE5ELNS1_11target_archE942ELNS1_3gpuE9ELNS1_3repE0EEENS1_30default_config_static_selectorELNS0_4arch9wavefront6targetE0EEEvSY_.num_vgpr, 0
	.set _ZN7rocprim17ROCPRIM_400000_NS6detail17trampoline_kernelINS0_14default_configENS1_22reduce_config_selectorIN6thrust23THRUST_200600_302600_NS5tupleIbffNS6_9null_typeES8_S8_S8_S8_S8_S8_EEEEZNS1_11reduce_implILb1ES3_NS6_11hip_rocprim26transform_input_iterator_tIS9_NS6_12zip_iteratorINS7_INS6_17counting_iteratorIiNS6_11use_defaultESG_SG_EENS6_6detail15normal_iteratorINS6_10device_ptrIfEEEES8_S8_S8_S8_S8_S8_S8_S8_EEEE15transform_tupleIifEEEPS9_S9_12reduce_tupleIifEEE10hipError_tPvRmT1_T2_T3_mT4_P12ihipStream_tbEUlT_E0_NS1_11comp_targetILNS1_3genE5ELNS1_11target_archE942ELNS1_3gpuE9ELNS1_3repE0EEENS1_30default_config_static_selectorELNS0_4arch9wavefront6targetE0EEEvSY_.num_agpr, 0
	.set _ZN7rocprim17ROCPRIM_400000_NS6detail17trampoline_kernelINS0_14default_configENS1_22reduce_config_selectorIN6thrust23THRUST_200600_302600_NS5tupleIbffNS6_9null_typeES8_S8_S8_S8_S8_S8_EEEEZNS1_11reduce_implILb1ES3_NS6_11hip_rocprim26transform_input_iterator_tIS9_NS6_12zip_iteratorINS7_INS6_17counting_iteratorIiNS6_11use_defaultESG_SG_EENS6_6detail15normal_iteratorINS6_10device_ptrIfEEEES8_S8_S8_S8_S8_S8_S8_S8_EEEE15transform_tupleIifEEEPS9_S9_12reduce_tupleIifEEE10hipError_tPvRmT1_T2_T3_mT4_P12ihipStream_tbEUlT_E0_NS1_11comp_targetILNS1_3genE5ELNS1_11target_archE942ELNS1_3gpuE9ELNS1_3repE0EEENS1_30default_config_static_selectorELNS0_4arch9wavefront6targetE0EEEvSY_.numbered_sgpr, 0
	.set _ZN7rocprim17ROCPRIM_400000_NS6detail17trampoline_kernelINS0_14default_configENS1_22reduce_config_selectorIN6thrust23THRUST_200600_302600_NS5tupleIbffNS6_9null_typeES8_S8_S8_S8_S8_S8_EEEEZNS1_11reduce_implILb1ES3_NS6_11hip_rocprim26transform_input_iterator_tIS9_NS6_12zip_iteratorINS7_INS6_17counting_iteratorIiNS6_11use_defaultESG_SG_EENS6_6detail15normal_iteratorINS6_10device_ptrIfEEEES8_S8_S8_S8_S8_S8_S8_S8_EEEE15transform_tupleIifEEEPS9_S9_12reduce_tupleIifEEE10hipError_tPvRmT1_T2_T3_mT4_P12ihipStream_tbEUlT_E0_NS1_11comp_targetILNS1_3genE5ELNS1_11target_archE942ELNS1_3gpuE9ELNS1_3repE0EEENS1_30default_config_static_selectorELNS0_4arch9wavefront6targetE0EEEvSY_.num_named_barrier, 0
	.set _ZN7rocprim17ROCPRIM_400000_NS6detail17trampoline_kernelINS0_14default_configENS1_22reduce_config_selectorIN6thrust23THRUST_200600_302600_NS5tupleIbffNS6_9null_typeES8_S8_S8_S8_S8_S8_EEEEZNS1_11reduce_implILb1ES3_NS6_11hip_rocprim26transform_input_iterator_tIS9_NS6_12zip_iteratorINS7_INS6_17counting_iteratorIiNS6_11use_defaultESG_SG_EENS6_6detail15normal_iteratorINS6_10device_ptrIfEEEES8_S8_S8_S8_S8_S8_S8_S8_EEEE15transform_tupleIifEEEPS9_S9_12reduce_tupleIifEEE10hipError_tPvRmT1_T2_T3_mT4_P12ihipStream_tbEUlT_E0_NS1_11comp_targetILNS1_3genE5ELNS1_11target_archE942ELNS1_3gpuE9ELNS1_3repE0EEENS1_30default_config_static_selectorELNS0_4arch9wavefront6targetE0EEEvSY_.private_seg_size, 0
	.set _ZN7rocprim17ROCPRIM_400000_NS6detail17trampoline_kernelINS0_14default_configENS1_22reduce_config_selectorIN6thrust23THRUST_200600_302600_NS5tupleIbffNS6_9null_typeES8_S8_S8_S8_S8_S8_EEEEZNS1_11reduce_implILb1ES3_NS6_11hip_rocprim26transform_input_iterator_tIS9_NS6_12zip_iteratorINS7_INS6_17counting_iteratorIiNS6_11use_defaultESG_SG_EENS6_6detail15normal_iteratorINS6_10device_ptrIfEEEES8_S8_S8_S8_S8_S8_S8_S8_EEEE15transform_tupleIifEEEPS9_S9_12reduce_tupleIifEEE10hipError_tPvRmT1_T2_T3_mT4_P12ihipStream_tbEUlT_E0_NS1_11comp_targetILNS1_3genE5ELNS1_11target_archE942ELNS1_3gpuE9ELNS1_3repE0EEENS1_30default_config_static_selectorELNS0_4arch9wavefront6targetE0EEEvSY_.uses_vcc, 0
	.set _ZN7rocprim17ROCPRIM_400000_NS6detail17trampoline_kernelINS0_14default_configENS1_22reduce_config_selectorIN6thrust23THRUST_200600_302600_NS5tupleIbffNS6_9null_typeES8_S8_S8_S8_S8_S8_EEEEZNS1_11reduce_implILb1ES3_NS6_11hip_rocprim26transform_input_iterator_tIS9_NS6_12zip_iteratorINS7_INS6_17counting_iteratorIiNS6_11use_defaultESG_SG_EENS6_6detail15normal_iteratorINS6_10device_ptrIfEEEES8_S8_S8_S8_S8_S8_S8_S8_EEEE15transform_tupleIifEEEPS9_S9_12reduce_tupleIifEEE10hipError_tPvRmT1_T2_T3_mT4_P12ihipStream_tbEUlT_E0_NS1_11comp_targetILNS1_3genE5ELNS1_11target_archE942ELNS1_3gpuE9ELNS1_3repE0EEENS1_30default_config_static_selectorELNS0_4arch9wavefront6targetE0EEEvSY_.uses_flat_scratch, 0
	.set _ZN7rocprim17ROCPRIM_400000_NS6detail17trampoline_kernelINS0_14default_configENS1_22reduce_config_selectorIN6thrust23THRUST_200600_302600_NS5tupleIbffNS6_9null_typeES8_S8_S8_S8_S8_S8_EEEEZNS1_11reduce_implILb1ES3_NS6_11hip_rocprim26transform_input_iterator_tIS9_NS6_12zip_iteratorINS7_INS6_17counting_iteratorIiNS6_11use_defaultESG_SG_EENS6_6detail15normal_iteratorINS6_10device_ptrIfEEEES8_S8_S8_S8_S8_S8_S8_S8_EEEE15transform_tupleIifEEEPS9_S9_12reduce_tupleIifEEE10hipError_tPvRmT1_T2_T3_mT4_P12ihipStream_tbEUlT_E0_NS1_11comp_targetILNS1_3genE5ELNS1_11target_archE942ELNS1_3gpuE9ELNS1_3repE0EEENS1_30default_config_static_selectorELNS0_4arch9wavefront6targetE0EEEvSY_.has_dyn_sized_stack, 0
	.set _ZN7rocprim17ROCPRIM_400000_NS6detail17trampoline_kernelINS0_14default_configENS1_22reduce_config_selectorIN6thrust23THRUST_200600_302600_NS5tupleIbffNS6_9null_typeES8_S8_S8_S8_S8_S8_EEEEZNS1_11reduce_implILb1ES3_NS6_11hip_rocprim26transform_input_iterator_tIS9_NS6_12zip_iteratorINS7_INS6_17counting_iteratorIiNS6_11use_defaultESG_SG_EENS6_6detail15normal_iteratorINS6_10device_ptrIfEEEES8_S8_S8_S8_S8_S8_S8_S8_EEEE15transform_tupleIifEEEPS9_S9_12reduce_tupleIifEEE10hipError_tPvRmT1_T2_T3_mT4_P12ihipStream_tbEUlT_E0_NS1_11comp_targetILNS1_3genE5ELNS1_11target_archE942ELNS1_3gpuE9ELNS1_3repE0EEENS1_30default_config_static_selectorELNS0_4arch9wavefront6targetE0EEEvSY_.has_recursion, 0
	.set _ZN7rocprim17ROCPRIM_400000_NS6detail17trampoline_kernelINS0_14default_configENS1_22reduce_config_selectorIN6thrust23THRUST_200600_302600_NS5tupleIbffNS6_9null_typeES8_S8_S8_S8_S8_S8_EEEEZNS1_11reduce_implILb1ES3_NS6_11hip_rocprim26transform_input_iterator_tIS9_NS6_12zip_iteratorINS7_INS6_17counting_iteratorIiNS6_11use_defaultESG_SG_EENS6_6detail15normal_iteratorINS6_10device_ptrIfEEEES8_S8_S8_S8_S8_S8_S8_S8_EEEE15transform_tupleIifEEEPS9_S9_12reduce_tupleIifEEE10hipError_tPvRmT1_T2_T3_mT4_P12ihipStream_tbEUlT_E0_NS1_11comp_targetILNS1_3genE5ELNS1_11target_archE942ELNS1_3gpuE9ELNS1_3repE0EEENS1_30default_config_static_selectorELNS0_4arch9wavefront6targetE0EEEvSY_.has_indirect_call, 0
	.section	.AMDGPU.csdata,"",@progbits
; Kernel info:
; codeLenInByte = 0
; TotalNumSgprs: 0
; NumVgprs: 0
; ScratchSize: 0
; MemoryBound: 0
; FloatMode: 240
; IeeeMode: 1
; LDSByteSize: 0 bytes/workgroup (compile time only)
; SGPRBlocks: 0
; VGPRBlocks: 0
; NumSGPRsForWavesPerEU: 1
; NumVGPRsForWavesPerEU: 1
; Occupancy: 16
; WaveLimiterHint : 0
; COMPUTE_PGM_RSRC2:SCRATCH_EN: 0
; COMPUTE_PGM_RSRC2:USER_SGPR: 6
; COMPUTE_PGM_RSRC2:TRAP_HANDLER: 0
; COMPUTE_PGM_RSRC2:TGID_X_EN: 1
; COMPUTE_PGM_RSRC2:TGID_Y_EN: 0
; COMPUTE_PGM_RSRC2:TGID_Z_EN: 0
; COMPUTE_PGM_RSRC2:TIDIG_COMP_CNT: 0
	.section	.text._ZN7rocprim17ROCPRIM_400000_NS6detail17trampoline_kernelINS0_14default_configENS1_22reduce_config_selectorIN6thrust23THRUST_200600_302600_NS5tupleIbffNS6_9null_typeES8_S8_S8_S8_S8_S8_EEEEZNS1_11reduce_implILb1ES3_NS6_11hip_rocprim26transform_input_iterator_tIS9_NS6_12zip_iteratorINS7_INS6_17counting_iteratorIiNS6_11use_defaultESG_SG_EENS6_6detail15normal_iteratorINS6_10device_ptrIfEEEES8_S8_S8_S8_S8_S8_S8_S8_EEEE15transform_tupleIifEEEPS9_S9_12reduce_tupleIifEEE10hipError_tPvRmT1_T2_T3_mT4_P12ihipStream_tbEUlT_E0_NS1_11comp_targetILNS1_3genE4ELNS1_11target_archE910ELNS1_3gpuE8ELNS1_3repE0EEENS1_30default_config_static_selectorELNS0_4arch9wavefront6targetE0EEEvSY_,"axG",@progbits,_ZN7rocprim17ROCPRIM_400000_NS6detail17trampoline_kernelINS0_14default_configENS1_22reduce_config_selectorIN6thrust23THRUST_200600_302600_NS5tupleIbffNS6_9null_typeES8_S8_S8_S8_S8_S8_EEEEZNS1_11reduce_implILb1ES3_NS6_11hip_rocprim26transform_input_iterator_tIS9_NS6_12zip_iteratorINS7_INS6_17counting_iteratorIiNS6_11use_defaultESG_SG_EENS6_6detail15normal_iteratorINS6_10device_ptrIfEEEES8_S8_S8_S8_S8_S8_S8_S8_EEEE15transform_tupleIifEEEPS9_S9_12reduce_tupleIifEEE10hipError_tPvRmT1_T2_T3_mT4_P12ihipStream_tbEUlT_E0_NS1_11comp_targetILNS1_3genE4ELNS1_11target_archE910ELNS1_3gpuE8ELNS1_3repE0EEENS1_30default_config_static_selectorELNS0_4arch9wavefront6targetE0EEEvSY_,comdat
	.protected	_ZN7rocprim17ROCPRIM_400000_NS6detail17trampoline_kernelINS0_14default_configENS1_22reduce_config_selectorIN6thrust23THRUST_200600_302600_NS5tupleIbffNS6_9null_typeES8_S8_S8_S8_S8_S8_EEEEZNS1_11reduce_implILb1ES3_NS6_11hip_rocprim26transform_input_iterator_tIS9_NS6_12zip_iteratorINS7_INS6_17counting_iteratorIiNS6_11use_defaultESG_SG_EENS6_6detail15normal_iteratorINS6_10device_ptrIfEEEES8_S8_S8_S8_S8_S8_S8_S8_EEEE15transform_tupleIifEEEPS9_S9_12reduce_tupleIifEEE10hipError_tPvRmT1_T2_T3_mT4_P12ihipStream_tbEUlT_E0_NS1_11comp_targetILNS1_3genE4ELNS1_11target_archE910ELNS1_3gpuE8ELNS1_3repE0EEENS1_30default_config_static_selectorELNS0_4arch9wavefront6targetE0EEEvSY_ ; -- Begin function _ZN7rocprim17ROCPRIM_400000_NS6detail17trampoline_kernelINS0_14default_configENS1_22reduce_config_selectorIN6thrust23THRUST_200600_302600_NS5tupleIbffNS6_9null_typeES8_S8_S8_S8_S8_S8_EEEEZNS1_11reduce_implILb1ES3_NS6_11hip_rocprim26transform_input_iterator_tIS9_NS6_12zip_iteratorINS7_INS6_17counting_iteratorIiNS6_11use_defaultESG_SG_EENS6_6detail15normal_iteratorINS6_10device_ptrIfEEEES8_S8_S8_S8_S8_S8_S8_S8_EEEE15transform_tupleIifEEEPS9_S9_12reduce_tupleIifEEE10hipError_tPvRmT1_T2_T3_mT4_P12ihipStream_tbEUlT_E0_NS1_11comp_targetILNS1_3genE4ELNS1_11target_archE910ELNS1_3gpuE8ELNS1_3repE0EEENS1_30default_config_static_selectorELNS0_4arch9wavefront6targetE0EEEvSY_
	.globl	_ZN7rocprim17ROCPRIM_400000_NS6detail17trampoline_kernelINS0_14default_configENS1_22reduce_config_selectorIN6thrust23THRUST_200600_302600_NS5tupleIbffNS6_9null_typeES8_S8_S8_S8_S8_S8_EEEEZNS1_11reduce_implILb1ES3_NS6_11hip_rocprim26transform_input_iterator_tIS9_NS6_12zip_iteratorINS7_INS6_17counting_iteratorIiNS6_11use_defaultESG_SG_EENS6_6detail15normal_iteratorINS6_10device_ptrIfEEEES8_S8_S8_S8_S8_S8_S8_S8_EEEE15transform_tupleIifEEEPS9_S9_12reduce_tupleIifEEE10hipError_tPvRmT1_T2_T3_mT4_P12ihipStream_tbEUlT_E0_NS1_11comp_targetILNS1_3genE4ELNS1_11target_archE910ELNS1_3gpuE8ELNS1_3repE0EEENS1_30default_config_static_selectorELNS0_4arch9wavefront6targetE0EEEvSY_
	.p2align	8
	.type	_ZN7rocprim17ROCPRIM_400000_NS6detail17trampoline_kernelINS0_14default_configENS1_22reduce_config_selectorIN6thrust23THRUST_200600_302600_NS5tupleIbffNS6_9null_typeES8_S8_S8_S8_S8_S8_EEEEZNS1_11reduce_implILb1ES3_NS6_11hip_rocprim26transform_input_iterator_tIS9_NS6_12zip_iteratorINS7_INS6_17counting_iteratorIiNS6_11use_defaultESG_SG_EENS6_6detail15normal_iteratorINS6_10device_ptrIfEEEES8_S8_S8_S8_S8_S8_S8_S8_EEEE15transform_tupleIifEEEPS9_S9_12reduce_tupleIifEEE10hipError_tPvRmT1_T2_T3_mT4_P12ihipStream_tbEUlT_E0_NS1_11comp_targetILNS1_3genE4ELNS1_11target_archE910ELNS1_3gpuE8ELNS1_3repE0EEENS1_30default_config_static_selectorELNS0_4arch9wavefront6targetE0EEEvSY_,@function
_ZN7rocprim17ROCPRIM_400000_NS6detail17trampoline_kernelINS0_14default_configENS1_22reduce_config_selectorIN6thrust23THRUST_200600_302600_NS5tupleIbffNS6_9null_typeES8_S8_S8_S8_S8_S8_EEEEZNS1_11reduce_implILb1ES3_NS6_11hip_rocprim26transform_input_iterator_tIS9_NS6_12zip_iteratorINS7_INS6_17counting_iteratorIiNS6_11use_defaultESG_SG_EENS6_6detail15normal_iteratorINS6_10device_ptrIfEEEES8_S8_S8_S8_S8_S8_S8_S8_EEEE15transform_tupleIifEEEPS9_S9_12reduce_tupleIifEEE10hipError_tPvRmT1_T2_T3_mT4_P12ihipStream_tbEUlT_E0_NS1_11comp_targetILNS1_3genE4ELNS1_11target_archE910ELNS1_3gpuE8ELNS1_3repE0EEENS1_30default_config_static_selectorELNS0_4arch9wavefront6targetE0EEEvSY_: ; @_ZN7rocprim17ROCPRIM_400000_NS6detail17trampoline_kernelINS0_14default_configENS1_22reduce_config_selectorIN6thrust23THRUST_200600_302600_NS5tupleIbffNS6_9null_typeES8_S8_S8_S8_S8_S8_EEEEZNS1_11reduce_implILb1ES3_NS6_11hip_rocprim26transform_input_iterator_tIS9_NS6_12zip_iteratorINS7_INS6_17counting_iteratorIiNS6_11use_defaultESG_SG_EENS6_6detail15normal_iteratorINS6_10device_ptrIfEEEES8_S8_S8_S8_S8_S8_S8_S8_EEEE15transform_tupleIifEEEPS9_S9_12reduce_tupleIifEEE10hipError_tPvRmT1_T2_T3_mT4_P12ihipStream_tbEUlT_E0_NS1_11comp_targetILNS1_3genE4ELNS1_11target_archE910ELNS1_3gpuE8ELNS1_3repE0EEENS1_30default_config_static_selectorELNS0_4arch9wavefront6targetE0EEEvSY_
; %bb.0:
	.section	.rodata,"a",@progbits
	.p2align	6, 0x0
	.amdhsa_kernel _ZN7rocprim17ROCPRIM_400000_NS6detail17trampoline_kernelINS0_14default_configENS1_22reduce_config_selectorIN6thrust23THRUST_200600_302600_NS5tupleIbffNS6_9null_typeES8_S8_S8_S8_S8_S8_EEEEZNS1_11reduce_implILb1ES3_NS6_11hip_rocprim26transform_input_iterator_tIS9_NS6_12zip_iteratorINS7_INS6_17counting_iteratorIiNS6_11use_defaultESG_SG_EENS6_6detail15normal_iteratorINS6_10device_ptrIfEEEES8_S8_S8_S8_S8_S8_S8_S8_EEEE15transform_tupleIifEEEPS9_S9_12reduce_tupleIifEEE10hipError_tPvRmT1_T2_T3_mT4_P12ihipStream_tbEUlT_E0_NS1_11comp_targetILNS1_3genE4ELNS1_11target_archE910ELNS1_3gpuE8ELNS1_3repE0EEENS1_30default_config_static_selectorELNS0_4arch9wavefront6targetE0EEEvSY_
		.amdhsa_group_segment_fixed_size 0
		.amdhsa_private_segment_fixed_size 0
		.amdhsa_kernarg_size 80
		.amdhsa_user_sgpr_count 6
		.amdhsa_user_sgpr_private_segment_buffer 1
		.amdhsa_user_sgpr_dispatch_ptr 0
		.amdhsa_user_sgpr_queue_ptr 0
		.amdhsa_user_sgpr_kernarg_segment_ptr 1
		.amdhsa_user_sgpr_dispatch_id 0
		.amdhsa_user_sgpr_flat_scratch_init 0
		.amdhsa_user_sgpr_private_segment_size 0
		.amdhsa_wavefront_size32 1
		.amdhsa_uses_dynamic_stack 0
		.amdhsa_system_sgpr_private_segment_wavefront_offset 0
		.amdhsa_system_sgpr_workgroup_id_x 1
		.amdhsa_system_sgpr_workgroup_id_y 0
		.amdhsa_system_sgpr_workgroup_id_z 0
		.amdhsa_system_sgpr_workgroup_info 0
		.amdhsa_system_vgpr_workitem_id 0
		.amdhsa_next_free_vgpr 1
		.amdhsa_next_free_sgpr 1
		.amdhsa_reserve_vcc 0
		.amdhsa_reserve_flat_scratch 0
		.amdhsa_float_round_mode_32 0
		.amdhsa_float_round_mode_16_64 0
		.amdhsa_float_denorm_mode_32 3
		.amdhsa_float_denorm_mode_16_64 3
		.amdhsa_dx10_clamp 1
		.amdhsa_ieee_mode 1
		.amdhsa_fp16_overflow 0
		.amdhsa_workgroup_processor_mode 1
		.amdhsa_memory_ordered 1
		.amdhsa_forward_progress 1
		.amdhsa_shared_vgpr_count 0
		.amdhsa_exception_fp_ieee_invalid_op 0
		.amdhsa_exception_fp_denorm_src 0
		.amdhsa_exception_fp_ieee_div_zero 0
		.amdhsa_exception_fp_ieee_overflow 0
		.amdhsa_exception_fp_ieee_underflow 0
		.amdhsa_exception_fp_ieee_inexact 0
		.amdhsa_exception_int_div_zero 0
	.end_amdhsa_kernel
	.section	.text._ZN7rocprim17ROCPRIM_400000_NS6detail17trampoline_kernelINS0_14default_configENS1_22reduce_config_selectorIN6thrust23THRUST_200600_302600_NS5tupleIbffNS6_9null_typeES8_S8_S8_S8_S8_S8_EEEEZNS1_11reduce_implILb1ES3_NS6_11hip_rocprim26transform_input_iterator_tIS9_NS6_12zip_iteratorINS7_INS6_17counting_iteratorIiNS6_11use_defaultESG_SG_EENS6_6detail15normal_iteratorINS6_10device_ptrIfEEEES8_S8_S8_S8_S8_S8_S8_S8_EEEE15transform_tupleIifEEEPS9_S9_12reduce_tupleIifEEE10hipError_tPvRmT1_T2_T3_mT4_P12ihipStream_tbEUlT_E0_NS1_11comp_targetILNS1_3genE4ELNS1_11target_archE910ELNS1_3gpuE8ELNS1_3repE0EEENS1_30default_config_static_selectorELNS0_4arch9wavefront6targetE0EEEvSY_,"axG",@progbits,_ZN7rocprim17ROCPRIM_400000_NS6detail17trampoline_kernelINS0_14default_configENS1_22reduce_config_selectorIN6thrust23THRUST_200600_302600_NS5tupleIbffNS6_9null_typeES8_S8_S8_S8_S8_S8_EEEEZNS1_11reduce_implILb1ES3_NS6_11hip_rocprim26transform_input_iterator_tIS9_NS6_12zip_iteratorINS7_INS6_17counting_iteratorIiNS6_11use_defaultESG_SG_EENS6_6detail15normal_iteratorINS6_10device_ptrIfEEEES8_S8_S8_S8_S8_S8_S8_S8_EEEE15transform_tupleIifEEEPS9_S9_12reduce_tupleIifEEE10hipError_tPvRmT1_T2_T3_mT4_P12ihipStream_tbEUlT_E0_NS1_11comp_targetILNS1_3genE4ELNS1_11target_archE910ELNS1_3gpuE8ELNS1_3repE0EEENS1_30default_config_static_selectorELNS0_4arch9wavefront6targetE0EEEvSY_,comdat
.Lfunc_end21:
	.size	_ZN7rocprim17ROCPRIM_400000_NS6detail17trampoline_kernelINS0_14default_configENS1_22reduce_config_selectorIN6thrust23THRUST_200600_302600_NS5tupleIbffNS6_9null_typeES8_S8_S8_S8_S8_S8_EEEEZNS1_11reduce_implILb1ES3_NS6_11hip_rocprim26transform_input_iterator_tIS9_NS6_12zip_iteratorINS7_INS6_17counting_iteratorIiNS6_11use_defaultESG_SG_EENS6_6detail15normal_iteratorINS6_10device_ptrIfEEEES8_S8_S8_S8_S8_S8_S8_S8_EEEE15transform_tupleIifEEEPS9_S9_12reduce_tupleIifEEE10hipError_tPvRmT1_T2_T3_mT4_P12ihipStream_tbEUlT_E0_NS1_11comp_targetILNS1_3genE4ELNS1_11target_archE910ELNS1_3gpuE8ELNS1_3repE0EEENS1_30default_config_static_selectorELNS0_4arch9wavefront6targetE0EEEvSY_, .Lfunc_end21-_ZN7rocprim17ROCPRIM_400000_NS6detail17trampoline_kernelINS0_14default_configENS1_22reduce_config_selectorIN6thrust23THRUST_200600_302600_NS5tupleIbffNS6_9null_typeES8_S8_S8_S8_S8_S8_EEEEZNS1_11reduce_implILb1ES3_NS6_11hip_rocprim26transform_input_iterator_tIS9_NS6_12zip_iteratorINS7_INS6_17counting_iteratorIiNS6_11use_defaultESG_SG_EENS6_6detail15normal_iteratorINS6_10device_ptrIfEEEES8_S8_S8_S8_S8_S8_S8_S8_EEEE15transform_tupleIifEEEPS9_S9_12reduce_tupleIifEEE10hipError_tPvRmT1_T2_T3_mT4_P12ihipStream_tbEUlT_E0_NS1_11comp_targetILNS1_3genE4ELNS1_11target_archE910ELNS1_3gpuE8ELNS1_3repE0EEENS1_30default_config_static_selectorELNS0_4arch9wavefront6targetE0EEEvSY_
                                        ; -- End function
	.set _ZN7rocprim17ROCPRIM_400000_NS6detail17trampoline_kernelINS0_14default_configENS1_22reduce_config_selectorIN6thrust23THRUST_200600_302600_NS5tupleIbffNS6_9null_typeES8_S8_S8_S8_S8_S8_EEEEZNS1_11reduce_implILb1ES3_NS6_11hip_rocprim26transform_input_iterator_tIS9_NS6_12zip_iteratorINS7_INS6_17counting_iteratorIiNS6_11use_defaultESG_SG_EENS6_6detail15normal_iteratorINS6_10device_ptrIfEEEES8_S8_S8_S8_S8_S8_S8_S8_EEEE15transform_tupleIifEEEPS9_S9_12reduce_tupleIifEEE10hipError_tPvRmT1_T2_T3_mT4_P12ihipStream_tbEUlT_E0_NS1_11comp_targetILNS1_3genE4ELNS1_11target_archE910ELNS1_3gpuE8ELNS1_3repE0EEENS1_30default_config_static_selectorELNS0_4arch9wavefront6targetE0EEEvSY_.num_vgpr, 0
	.set _ZN7rocprim17ROCPRIM_400000_NS6detail17trampoline_kernelINS0_14default_configENS1_22reduce_config_selectorIN6thrust23THRUST_200600_302600_NS5tupleIbffNS6_9null_typeES8_S8_S8_S8_S8_S8_EEEEZNS1_11reduce_implILb1ES3_NS6_11hip_rocprim26transform_input_iterator_tIS9_NS6_12zip_iteratorINS7_INS6_17counting_iteratorIiNS6_11use_defaultESG_SG_EENS6_6detail15normal_iteratorINS6_10device_ptrIfEEEES8_S8_S8_S8_S8_S8_S8_S8_EEEE15transform_tupleIifEEEPS9_S9_12reduce_tupleIifEEE10hipError_tPvRmT1_T2_T3_mT4_P12ihipStream_tbEUlT_E0_NS1_11comp_targetILNS1_3genE4ELNS1_11target_archE910ELNS1_3gpuE8ELNS1_3repE0EEENS1_30default_config_static_selectorELNS0_4arch9wavefront6targetE0EEEvSY_.num_agpr, 0
	.set _ZN7rocprim17ROCPRIM_400000_NS6detail17trampoline_kernelINS0_14default_configENS1_22reduce_config_selectorIN6thrust23THRUST_200600_302600_NS5tupleIbffNS6_9null_typeES8_S8_S8_S8_S8_S8_EEEEZNS1_11reduce_implILb1ES3_NS6_11hip_rocprim26transform_input_iterator_tIS9_NS6_12zip_iteratorINS7_INS6_17counting_iteratorIiNS6_11use_defaultESG_SG_EENS6_6detail15normal_iteratorINS6_10device_ptrIfEEEES8_S8_S8_S8_S8_S8_S8_S8_EEEE15transform_tupleIifEEEPS9_S9_12reduce_tupleIifEEE10hipError_tPvRmT1_T2_T3_mT4_P12ihipStream_tbEUlT_E0_NS1_11comp_targetILNS1_3genE4ELNS1_11target_archE910ELNS1_3gpuE8ELNS1_3repE0EEENS1_30default_config_static_selectorELNS0_4arch9wavefront6targetE0EEEvSY_.numbered_sgpr, 0
	.set _ZN7rocprim17ROCPRIM_400000_NS6detail17trampoline_kernelINS0_14default_configENS1_22reduce_config_selectorIN6thrust23THRUST_200600_302600_NS5tupleIbffNS6_9null_typeES8_S8_S8_S8_S8_S8_EEEEZNS1_11reduce_implILb1ES3_NS6_11hip_rocprim26transform_input_iterator_tIS9_NS6_12zip_iteratorINS7_INS6_17counting_iteratorIiNS6_11use_defaultESG_SG_EENS6_6detail15normal_iteratorINS6_10device_ptrIfEEEES8_S8_S8_S8_S8_S8_S8_S8_EEEE15transform_tupleIifEEEPS9_S9_12reduce_tupleIifEEE10hipError_tPvRmT1_T2_T3_mT4_P12ihipStream_tbEUlT_E0_NS1_11comp_targetILNS1_3genE4ELNS1_11target_archE910ELNS1_3gpuE8ELNS1_3repE0EEENS1_30default_config_static_selectorELNS0_4arch9wavefront6targetE0EEEvSY_.num_named_barrier, 0
	.set _ZN7rocprim17ROCPRIM_400000_NS6detail17trampoline_kernelINS0_14default_configENS1_22reduce_config_selectorIN6thrust23THRUST_200600_302600_NS5tupleIbffNS6_9null_typeES8_S8_S8_S8_S8_S8_EEEEZNS1_11reduce_implILb1ES3_NS6_11hip_rocprim26transform_input_iterator_tIS9_NS6_12zip_iteratorINS7_INS6_17counting_iteratorIiNS6_11use_defaultESG_SG_EENS6_6detail15normal_iteratorINS6_10device_ptrIfEEEES8_S8_S8_S8_S8_S8_S8_S8_EEEE15transform_tupleIifEEEPS9_S9_12reduce_tupleIifEEE10hipError_tPvRmT1_T2_T3_mT4_P12ihipStream_tbEUlT_E0_NS1_11comp_targetILNS1_3genE4ELNS1_11target_archE910ELNS1_3gpuE8ELNS1_3repE0EEENS1_30default_config_static_selectorELNS0_4arch9wavefront6targetE0EEEvSY_.private_seg_size, 0
	.set _ZN7rocprim17ROCPRIM_400000_NS6detail17trampoline_kernelINS0_14default_configENS1_22reduce_config_selectorIN6thrust23THRUST_200600_302600_NS5tupleIbffNS6_9null_typeES8_S8_S8_S8_S8_S8_EEEEZNS1_11reduce_implILb1ES3_NS6_11hip_rocprim26transform_input_iterator_tIS9_NS6_12zip_iteratorINS7_INS6_17counting_iteratorIiNS6_11use_defaultESG_SG_EENS6_6detail15normal_iteratorINS6_10device_ptrIfEEEES8_S8_S8_S8_S8_S8_S8_S8_EEEE15transform_tupleIifEEEPS9_S9_12reduce_tupleIifEEE10hipError_tPvRmT1_T2_T3_mT4_P12ihipStream_tbEUlT_E0_NS1_11comp_targetILNS1_3genE4ELNS1_11target_archE910ELNS1_3gpuE8ELNS1_3repE0EEENS1_30default_config_static_selectorELNS0_4arch9wavefront6targetE0EEEvSY_.uses_vcc, 0
	.set _ZN7rocprim17ROCPRIM_400000_NS6detail17trampoline_kernelINS0_14default_configENS1_22reduce_config_selectorIN6thrust23THRUST_200600_302600_NS5tupleIbffNS6_9null_typeES8_S8_S8_S8_S8_S8_EEEEZNS1_11reduce_implILb1ES3_NS6_11hip_rocprim26transform_input_iterator_tIS9_NS6_12zip_iteratorINS7_INS6_17counting_iteratorIiNS6_11use_defaultESG_SG_EENS6_6detail15normal_iteratorINS6_10device_ptrIfEEEES8_S8_S8_S8_S8_S8_S8_S8_EEEE15transform_tupleIifEEEPS9_S9_12reduce_tupleIifEEE10hipError_tPvRmT1_T2_T3_mT4_P12ihipStream_tbEUlT_E0_NS1_11comp_targetILNS1_3genE4ELNS1_11target_archE910ELNS1_3gpuE8ELNS1_3repE0EEENS1_30default_config_static_selectorELNS0_4arch9wavefront6targetE0EEEvSY_.uses_flat_scratch, 0
	.set _ZN7rocprim17ROCPRIM_400000_NS6detail17trampoline_kernelINS0_14default_configENS1_22reduce_config_selectorIN6thrust23THRUST_200600_302600_NS5tupleIbffNS6_9null_typeES8_S8_S8_S8_S8_S8_EEEEZNS1_11reduce_implILb1ES3_NS6_11hip_rocprim26transform_input_iterator_tIS9_NS6_12zip_iteratorINS7_INS6_17counting_iteratorIiNS6_11use_defaultESG_SG_EENS6_6detail15normal_iteratorINS6_10device_ptrIfEEEES8_S8_S8_S8_S8_S8_S8_S8_EEEE15transform_tupleIifEEEPS9_S9_12reduce_tupleIifEEE10hipError_tPvRmT1_T2_T3_mT4_P12ihipStream_tbEUlT_E0_NS1_11comp_targetILNS1_3genE4ELNS1_11target_archE910ELNS1_3gpuE8ELNS1_3repE0EEENS1_30default_config_static_selectorELNS0_4arch9wavefront6targetE0EEEvSY_.has_dyn_sized_stack, 0
	.set _ZN7rocprim17ROCPRIM_400000_NS6detail17trampoline_kernelINS0_14default_configENS1_22reduce_config_selectorIN6thrust23THRUST_200600_302600_NS5tupleIbffNS6_9null_typeES8_S8_S8_S8_S8_S8_EEEEZNS1_11reduce_implILb1ES3_NS6_11hip_rocprim26transform_input_iterator_tIS9_NS6_12zip_iteratorINS7_INS6_17counting_iteratorIiNS6_11use_defaultESG_SG_EENS6_6detail15normal_iteratorINS6_10device_ptrIfEEEES8_S8_S8_S8_S8_S8_S8_S8_EEEE15transform_tupleIifEEEPS9_S9_12reduce_tupleIifEEE10hipError_tPvRmT1_T2_T3_mT4_P12ihipStream_tbEUlT_E0_NS1_11comp_targetILNS1_3genE4ELNS1_11target_archE910ELNS1_3gpuE8ELNS1_3repE0EEENS1_30default_config_static_selectorELNS0_4arch9wavefront6targetE0EEEvSY_.has_recursion, 0
	.set _ZN7rocprim17ROCPRIM_400000_NS6detail17trampoline_kernelINS0_14default_configENS1_22reduce_config_selectorIN6thrust23THRUST_200600_302600_NS5tupleIbffNS6_9null_typeES8_S8_S8_S8_S8_S8_EEEEZNS1_11reduce_implILb1ES3_NS6_11hip_rocprim26transform_input_iterator_tIS9_NS6_12zip_iteratorINS7_INS6_17counting_iteratorIiNS6_11use_defaultESG_SG_EENS6_6detail15normal_iteratorINS6_10device_ptrIfEEEES8_S8_S8_S8_S8_S8_S8_S8_EEEE15transform_tupleIifEEEPS9_S9_12reduce_tupleIifEEE10hipError_tPvRmT1_T2_T3_mT4_P12ihipStream_tbEUlT_E0_NS1_11comp_targetILNS1_3genE4ELNS1_11target_archE910ELNS1_3gpuE8ELNS1_3repE0EEENS1_30default_config_static_selectorELNS0_4arch9wavefront6targetE0EEEvSY_.has_indirect_call, 0
	.section	.AMDGPU.csdata,"",@progbits
; Kernel info:
; codeLenInByte = 0
; TotalNumSgprs: 0
; NumVgprs: 0
; ScratchSize: 0
; MemoryBound: 0
; FloatMode: 240
; IeeeMode: 1
; LDSByteSize: 0 bytes/workgroup (compile time only)
; SGPRBlocks: 0
; VGPRBlocks: 0
; NumSGPRsForWavesPerEU: 1
; NumVGPRsForWavesPerEU: 1
; Occupancy: 16
; WaveLimiterHint : 0
; COMPUTE_PGM_RSRC2:SCRATCH_EN: 0
; COMPUTE_PGM_RSRC2:USER_SGPR: 6
; COMPUTE_PGM_RSRC2:TRAP_HANDLER: 0
; COMPUTE_PGM_RSRC2:TGID_X_EN: 1
; COMPUTE_PGM_RSRC2:TGID_Y_EN: 0
; COMPUTE_PGM_RSRC2:TGID_Z_EN: 0
; COMPUTE_PGM_RSRC2:TIDIG_COMP_CNT: 0
	.section	.text._ZN7rocprim17ROCPRIM_400000_NS6detail17trampoline_kernelINS0_14default_configENS1_22reduce_config_selectorIN6thrust23THRUST_200600_302600_NS5tupleIbffNS6_9null_typeES8_S8_S8_S8_S8_S8_EEEEZNS1_11reduce_implILb1ES3_NS6_11hip_rocprim26transform_input_iterator_tIS9_NS6_12zip_iteratorINS7_INS6_17counting_iteratorIiNS6_11use_defaultESG_SG_EENS6_6detail15normal_iteratorINS6_10device_ptrIfEEEES8_S8_S8_S8_S8_S8_S8_S8_EEEE15transform_tupleIifEEEPS9_S9_12reduce_tupleIifEEE10hipError_tPvRmT1_T2_T3_mT4_P12ihipStream_tbEUlT_E0_NS1_11comp_targetILNS1_3genE3ELNS1_11target_archE908ELNS1_3gpuE7ELNS1_3repE0EEENS1_30default_config_static_selectorELNS0_4arch9wavefront6targetE0EEEvSY_,"axG",@progbits,_ZN7rocprim17ROCPRIM_400000_NS6detail17trampoline_kernelINS0_14default_configENS1_22reduce_config_selectorIN6thrust23THRUST_200600_302600_NS5tupleIbffNS6_9null_typeES8_S8_S8_S8_S8_S8_EEEEZNS1_11reduce_implILb1ES3_NS6_11hip_rocprim26transform_input_iterator_tIS9_NS6_12zip_iteratorINS7_INS6_17counting_iteratorIiNS6_11use_defaultESG_SG_EENS6_6detail15normal_iteratorINS6_10device_ptrIfEEEES8_S8_S8_S8_S8_S8_S8_S8_EEEE15transform_tupleIifEEEPS9_S9_12reduce_tupleIifEEE10hipError_tPvRmT1_T2_T3_mT4_P12ihipStream_tbEUlT_E0_NS1_11comp_targetILNS1_3genE3ELNS1_11target_archE908ELNS1_3gpuE7ELNS1_3repE0EEENS1_30default_config_static_selectorELNS0_4arch9wavefront6targetE0EEEvSY_,comdat
	.protected	_ZN7rocprim17ROCPRIM_400000_NS6detail17trampoline_kernelINS0_14default_configENS1_22reduce_config_selectorIN6thrust23THRUST_200600_302600_NS5tupleIbffNS6_9null_typeES8_S8_S8_S8_S8_S8_EEEEZNS1_11reduce_implILb1ES3_NS6_11hip_rocprim26transform_input_iterator_tIS9_NS6_12zip_iteratorINS7_INS6_17counting_iteratorIiNS6_11use_defaultESG_SG_EENS6_6detail15normal_iteratorINS6_10device_ptrIfEEEES8_S8_S8_S8_S8_S8_S8_S8_EEEE15transform_tupleIifEEEPS9_S9_12reduce_tupleIifEEE10hipError_tPvRmT1_T2_T3_mT4_P12ihipStream_tbEUlT_E0_NS1_11comp_targetILNS1_3genE3ELNS1_11target_archE908ELNS1_3gpuE7ELNS1_3repE0EEENS1_30default_config_static_selectorELNS0_4arch9wavefront6targetE0EEEvSY_ ; -- Begin function _ZN7rocprim17ROCPRIM_400000_NS6detail17trampoline_kernelINS0_14default_configENS1_22reduce_config_selectorIN6thrust23THRUST_200600_302600_NS5tupleIbffNS6_9null_typeES8_S8_S8_S8_S8_S8_EEEEZNS1_11reduce_implILb1ES3_NS6_11hip_rocprim26transform_input_iterator_tIS9_NS6_12zip_iteratorINS7_INS6_17counting_iteratorIiNS6_11use_defaultESG_SG_EENS6_6detail15normal_iteratorINS6_10device_ptrIfEEEES8_S8_S8_S8_S8_S8_S8_S8_EEEE15transform_tupleIifEEEPS9_S9_12reduce_tupleIifEEE10hipError_tPvRmT1_T2_T3_mT4_P12ihipStream_tbEUlT_E0_NS1_11comp_targetILNS1_3genE3ELNS1_11target_archE908ELNS1_3gpuE7ELNS1_3repE0EEENS1_30default_config_static_selectorELNS0_4arch9wavefront6targetE0EEEvSY_
	.globl	_ZN7rocprim17ROCPRIM_400000_NS6detail17trampoline_kernelINS0_14default_configENS1_22reduce_config_selectorIN6thrust23THRUST_200600_302600_NS5tupleIbffNS6_9null_typeES8_S8_S8_S8_S8_S8_EEEEZNS1_11reduce_implILb1ES3_NS6_11hip_rocprim26transform_input_iterator_tIS9_NS6_12zip_iteratorINS7_INS6_17counting_iteratorIiNS6_11use_defaultESG_SG_EENS6_6detail15normal_iteratorINS6_10device_ptrIfEEEES8_S8_S8_S8_S8_S8_S8_S8_EEEE15transform_tupleIifEEEPS9_S9_12reduce_tupleIifEEE10hipError_tPvRmT1_T2_T3_mT4_P12ihipStream_tbEUlT_E0_NS1_11comp_targetILNS1_3genE3ELNS1_11target_archE908ELNS1_3gpuE7ELNS1_3repE0EEENS1_30default_config_static_selectorELNS0_4arch9wavefront6targetE0EEEvSY_
	.p2align	8
	.type	_ZN7rocprim17ROCPRIM_400000_NS6detail17trampoline_kernelINS0_14default_configENS1_22reduce_config_selectorIN6thrust23THRUST_200600_302600_NS5tupleIbffNS6_9null_typeES8_S8_S8_S8_S8_S8_EEEEZNS1_11reduce_implILb1ES3_NS6_11hip_rocprim26transform_input_iterator_tIS9_NS6_12zip_iteratorINS7_INS6_17counting_iteratorIiNS6_11use_defaultESG_SG_EENS6_6detail15normal_iteratorINS6_10device_ptrIfEEEES8_S8_S8_S8_S8_S8_S8_S8_EEEE15transform_tupleIifEEEPS9_S9_12reduce_tupleIifEEE10hipError_tPvRmT1_T2_T3_mT4_P12ihipStream_tbEUlT_E0_NS1_11comp_targetILNS1_3genE3ELNS1_11target_archE908ELNS1_3gpuE7ELNS1_3repE0EEENS1_30default_config_static_selectorELNS0_4arch9wavefront6targetE0EEEvSY_,@function
_ZN7rocprim17ROCPRIM_400000_NS6detail17trampoline_kernelINS0_14default_configENS1_22reduce_config_selectorIN6thrust23THRUST_200600_302600_NS5tupleIbffNS6_9null_typeES8_S8_S8_S8_S8_S8_EEEEZNS1_11reduce_implILb1ES3_NS6_11hip_rocprim26transform_input_iterator_tIS9_NS6_12zip_iteratorINS7_INS6_17counting_iteratorIiNS6_11use_defaultESG_SG_EENS6_6detail15normal_iteratorINS6_10device_ptrIfEEEES8_S8_S8_S8_S8_S8_S8_S8_EEEE15transform_tupleIifEEEPS9_S9_12reduce_tupleIifEEE10hipError_tPvRmT1_T2_T3_mT4_P12ihipStream_tbEUlT_E0_NS1_11comp_targetILNS1_3genE3ELNS1_11target_archE908ELNS1_3gpuE7ELNS1_3repE0EEENS1_30default_config_static_selectorELNS0_4arch9wavefront6targetE0EEEvSY_: ; @_ZN7rocprim17ROCPRIM_400000_NS6detail17trampoline_kernelINS0_14default_configENS1_22reduce_config_selectorIN6thrust23THRUST_200600_302600_NS5tupleIbffNS6_9null_typeES8_S8_S8_S8_S8_S8_EEEEZNS1_11reduce_implILb1ES3_NS6_11hip_rocprim26transform_input_iterator_tIS9_NS6_12zip_iteratorINS7_INS6_17counting_iteratorIiNS6_11use_defaultESG_SG_EENS6_6detail15normal_iteratorINS6_10device_ptrIfEEEES8_S8_S8_S8_S8_S8_S8_S8_EEEE15transform_tupleIifEEEPS9_S9_12reduce_tupleIifEEE10hipError_tPvRmT1_T2_T3_mT4_P12ihipStream_tbEUlT_E0_NS1_11comp_targetILNS1_3genE3ELNS1_11target_archE908ELNS1_3gpuE7ELNS1_3repE0EEENS1_30default_config_static_selectorELNS0_4arch9wavefront6targetE0EEEvSY_
; %bb.0:
	.section	.rodata,"a",@progbits
	.p2align	6, 0x0
	.amdhsa_kernel _ZN7rocprim17ROCPRIM_400000_NS6detail17trampoline_kernelINS0_14default_configENS1_22reduce_config_selectorIN6thrust23THRUST_200600_302600_NS5tupleIbffNS6_9null_typeES8_S8_S8_S8_S8_S8_EEEEZNS1_11reduce_implILb1ES3_NS6_11hip_rocprim26transform_input_iterator_tIS9_NS6_12zip_iteratorINS7_INS6_17counting_iteratorIiNS6_11use_defaultESG_SG_EENS6_6detail15normal_iteratorINS6_10device_ptrIfEEEES8_S8_S8_S8_S8_S8_S8_S8_EEEE15transform_tupleIifEEEPS9_S9_12reduce_tupleIifEEE10hipError_tPvRmT1_T2_T3_mT4_P12ihipStream_tbEUlT_E0_NS1_11comp_targetILNS1_3genE3ELNS1_11target_archE908ELNS1_3gpuE7ELNS1_3repE0EEENS1_30default_config_static_selectorELNS0_4arch9wavefront6targetE0EEEvSY_
		.amdhsa_group_segment_fixed_size 0
		.amdhsa_private_segment_fixed_size 0
		.amdhsa_kernarg_size 80
		.amdhsa_user_sgpr_count 6
		.amdhsa_user_sgpr_private_segment_buffer 1
		.amdhsa_user_sgpr_dispatch_ptr 0
		.amdhsa_user_sgpr_queue_ptr 0
		.amdhsa_user_sgpr_kernarg_segment_ptr 1
		.amdhsa_user_sgpr_dispatch_id 0
		.amdhsa_user_sgpr_flat_scratch_init 0
		.amdhsa_user_sgpr_private_segment_size 0
		.amdhsa_wavefront_size32 1
		.amdhsa_uses_dynamic_stack 0
		.amdhsa_system_sgpr_private_segment_wavefront_offset 0
		.amdhsa_system_sgpr_workgroup_id_x 1
		.amdhsa_system_sgpr_workgroup_id_y 0
		.amdhsa_system_sgpr_workgroup_id_z 0
		.amdhsa_system_sgpr_workgroup_info 0
		.amdhsa_system_vgpr_workitem_id 0
		.amdhsa_next_free_vgpr 1
		.amdhsa_next_free_sgpr 1
		.amdhsa_reserve_vcc 0
		.amdhsa_reserve_flat_scratch 0
		.amdhsa_float_round_mode_32 0
		.amdhsa_float_round_mode_16_64 0
		.amdhsa_float_denorm_mode_32 3
		.amdhsa_float_denorm_mode_16_64 3
		.amdhsa_dx10_clamp 1
		.amdhsa_ieee_mode 1
		.amdhsa_fp16_overflow 0
		.amdhsa_workgroup_processor_mode 1
		.amdhsa_memory_ordered 1
		.amdhsa_forward_progress 1
		.amdhsa_shared_vgpr_count 0
		.amdhsa_exception_fp_ieee_invalid_op 0
		.amdhsa_exception_fp_denorm_src 0
		.amdhsa_exception_fp_ieee_div_zero 0
		.amdhsa_exception_fp_ieee_overflow 0
		.amdhsa_exception_fp_ieee_underflow 0
		.amdhsa_exception_fp_ieee_inexact 0
		.amdhsa_exception_int_div_zero 0
	.end_amdhsa_kernel
	.section	.text._ZN7rocprim17ROCPRIM_400000_NS6detail17trampoline_kernelINS0_14default_configENS1_22reduce_config_selectorIN6thrust23THRUST_200600_302600_NS5tupleIbffNS6_9null_typeES8_S8_S8_S8_S8_S8_EEEEZNS1_11reduce_implILb1ES3_NS6_11hip_rocprim26transform_input_iterator_tIS9_NS6_12zip_iteratorINS7_INS6_17counting_iteratorIiNS6_11use_defaultESG_SG_EENS6_6detail15normal_iteratorINS6_10device_ptrIfEEEES8_S8_S8_S8_S8_S8_S8_S8_EEEE15transform_tupleIifEEEPS9_S9_12reduce_tupleIifEEE10hipError_tPvRmT1_T2_T3_mT4_P12ihipStream_tbEUlT_E0_NS1_11comp_targetILNS1_3genE3ELNS1_11target_archE908ELNS1_3gpuE7ELNS1_3repE0EEENS1_30default_config_static_selectorELNS0_4arch9wavefront6targetE0EEEvSY_,"axG",@progbits,_ZN7rocprim17ROCPRIM_400000_NS6detail17trampoline_kernelINS0_14default_configENS1_22reduce_config_selectorIN6thrust23THRUST_200600_302600_NS5tupleIbffNS6_9null_typeES8_S8_S8_S8_S8_S8_EEEEZNS1_11reduce_implILb1ES3_NS6_11hip_rocprim26transform_input_iterator_tIS9_NS6_12zip_iteratorINS7_INS6_17counting_iteratorIiNS6_11use_defaultESG_SG_EENS6_6detail15normal_iteratorINS6_10device_ptrIfEEEES8_S8_S8_S8_S8_S8_S8_S8_EEEE15transform_tupleIifEEEPS9_S9_12reduce_tupleIifEEE10hipError_tPvRmT1_T2_T3_mT4_P12ihipStream_tbEUlT_E0_NS1_11comp_targetILNS1_3genE3ELNS1_11target_archE908ELNS1_3gpuE7ELNS1_3repE0EEENS1_30default_config_static_selectorELNS0_4arch9wavefront6targetE0EEEvSY_,comdat
.Lfunc_end22:
	.size	_ZN7rocprim17ROCPRIM_400000_NS6detail17trampoline_kernelINS0_14default_configENS1_22reduce_config_selectorIN6thrust23THRUST_200600_302600_NS5tupleIbffNS6_9null_typeES8_S8_S8_S8_S8_S8_EEEEZNS1_11reduce_implILb1ES3_NS6_11hip_rocprim26transform_input_iterator_tIS9_NS6_12zip_iteratorINS7_INS6_17counting_iteratorIiNS6_11use_defaultESG_SG_EENS6_6detail15normal_iteratorINS6_10device_ptrIfEEEES8_S8_S8_S8_S8_S8_S8_S8_EEEE15transform_tupleIifEEEPS9_S9_12reduce_tupleIifEEE10hipError_tPvRmT1_T2_T3_mT4_P12ihipStream_tbEUlT_E0_NS1_11comp_targetILNS1_3genE3ELNS1_11target_archE908ELNS1_3gpuE7ELNS1_3repE0EEENS1_30default_config_static_selectorELNS0_4arch9wavefront6targetE0EEEvSY_, .Lfunc_end22-_ZN7rocprim17ROCPRIM_400000_NS6detail17trampoline_kernelINS0_14default_configENS1_22reduce_config_selectorIN6thrust23THRUST_200600_302600_NS5tupleIbffNS6_9null_typeES8_S8_S8_S8_S8_S8_EEEEZNS1_11reduce_implILb1ES3_NS6_11hip_rocprim26transform_input_iterator_tIS9_NS6_12zip_iteratorINS7_INS6_17counting_iteratorIiNS6_11use_defaultESG_SG_EENS6_6detail15normal_iteratorINS6_10device_ptrIfEEEES8_S8_S8_S8_S8_S8_S8_S8_EEEE15transform_tupleIifEEEPS9_S9_12reduce_tupleIifEEE10hipError_tPvRmT1_T2_T3_mT4_P12ihipStream_tbEUlT_E0_NS1_11comp_targetILNS1_3genE3ELNS1_11target_archE908ELNS1_3gpuE7ELNS1_3repE0EEENS1_30default_config_static_selectorELNS0_4arch9wavefront6targetE0EEEvSY_
                                        ; -- End function
	.set _ZN7rocprim17ROCPRIM_400000_NS6detail17trampoline_kernelINS0_14default_configENS1_22reduce_config_selectorIN6thrust23THRUST_200600_302600_NS5tupleIbffNS6_9null_typeES8_S8_S8_S8_S8_S8_EEEEZNS1_11reduce_implILb1ES3_NS6_11hip_rocprim26transform_input_iterator_tIS9_NS6_12zip_iteratorINS7_INS6_17counting_iteratorIiNS6_11use_defaultESG_SG_EENS6_6detail15normal_iteratorINS6_10device_ptrIfEEEES8_S8_S8_S8_S8_S8_S8_S8_EEEE15transform_tupleIifEEEPS9_S9_12reduce_tupleIifEEE10hipError_tPvRmT1_T2_T3_mT4_P12ihipStream_tbEUlT_E0_NS1_11comp_targetILNS1_3genE3ELNS1_11target_archE908ELNS1_3gpuE7ELNS1_3repE0EEENS1_30default_config_static_selectorELNS0_4arch9wavefront6targetE0EEEvSY_.num_vgpr, 0
	.set _ZN7rocprim17ROCPRIM_400000_NS6detail17trampoline_kernelINS0_14default_configENS1_22reduce_config_selectorIN6thrust23THRUST_200600_302600_NS5tupleIbffNS6_9null_typeES8_S8_S8_S8_S8_S8_EEEEZNS1_11reduce_implILb1ES3_NS6_11hip_rocprim26transform_input_iterator_tIS9_NS6_12zip_iteratorINS7_INS6_17counting_iteratorIiNS6_11use_defaultESG_SG_EENS6_6detail15normal_iteratorINS6_10device_ptrIfEEEES8_S8_S8_S8_S8_S8_S8_S8_EEEE15transform_tupleIifEEEPS9_S9_12reduce_tupleIifEEE10hipError_tPvRmT1_T2_T3_mT4_P12ihipStream_tbEUlT_E0_NS1_11comp_targetILNS1_3genE3ELNS1_11target_archE908ELNS1_3gpuE7ELNS1_3repE0EEENS1_30default_config_static_selectorELNS0_4arch9wavefront6targetE0EEEvSY_.num_agpr, 0
	.set _ZN7rocprim17ROCPRIM_400000_NS6detail17trampoline_kernelINS0_14default_configENS1_22reduce_config_selectorIN6thrust23THRUST_200600_302600_NS5tupleIbffNS6_9null_typeES8_S8_S8_S8_S8_S8_EEEEZNS1_11reduce_implILb1ES3_NS6_11hip_rocprim26transform_input_iterator_tIS9_NS6_12zip_iteratorINS7_INS6_17counting_iteratorIiNS6_11use_defaultESG_SG_EENS6_6detail15normal_iteratorINS6_10device_ptrIfEEEES8_S8_S8_S8_S8_S8_S8_S8_EEEE15transform_tupleIifEEEPS9_S9_12reduce_tupleIifEEE10hipError_tPvRmT1_T2_T3_mT4_P12ihipStream_tbEUlT_E0_NS1_11comp_targetILNS1_3genE3ELNS1_11target_archE908ELNS1_3gpuE7ELNS1_3repE0EEENS1_30default_config_static_selectorELNS0_4arch9wavefront6targetE0EEEvSY_.numbered_sgpr, 0
	.set _ZN7rocprim17ROCPRIM_400000_NS6detail17trampoline_kernelINS0_14default_configENS1_22reduce_config_selectorIN6thrust23THRUST_200600_302600_NS5tupleIbffNS6_9null_typeES8_S8_S8_S8_S8_S8_EEEEZNS1_11reduce_implILb1ES3_NS6_11hip_rocprim26transform_input_iterator_tIS9_NS6_12zip_iteratorINS7_INS6_17counting_iteratorIiNS6_11use_defaultESG_SG_EENS6_6detail15normal_iteratorINS6_10device_ptrIfEEEES8_S8_S8_S8_S8_S8_S8_S8_EEEE15transform_tupleIifEEEPS9_S9_12reduce_tupleIifEEE10hipError_tPvRmT1_T2_T3_mT4_P12ihipStream_tbEUlT_E0_NS1_11comp_targetILNS1_3genE3ELNS1_11target_archE908ELNS1_3gpuE7ELNS1_3repE0EEENS1_30default_config_static_selectorELNS0_4arch9wavefront6targetE0EEEvSY_.num_named_barrier, 0
	.set _ZN7rocprim17ROCPRIM_400000_NS6detail17trampoline_kernelINS0_14default_configENS1_22reduce_config_selectorIN6thrust23THRUST_200600_302600_NS5tupleIbffNS6_9null_typeES8_S8_S8_S8_S8_S8_EEEEZNS1_11reduce_implILb1ES3_NS6_11hip_rocprim26transform_input_iterator_tIS9_NS6_12zip_iteratorINS7_INS6_17counting_iteratorIiNS6_11use_defaultESG_SG_EENS6_6detail15normal_iteratorINS6_10device_ptrIfEEEES8_S8_S8_S8_S8_S8_S8_S8_EEEE15transform_tupleIifEEEPS9_S9_12reduce_tupleIifEEE10hipError_tPvRmT1_T2_T3_mT4_P12ihipStream_tbEUlT_E0_NS1_11comp_targetILNS1_3genE3ELNS1_11target_archE908ELNS1_3gpuE7ELNS1_3repE0EEENS1_30default_config_static_selectorELNS0_4arch9wavefront6targetE0EEEvSY_.private_seg_size, 0
	.set _ZN7rocprim17ROCPRIM_400000_NS6detail17trampoline_kernelINS0_14default_configENS1_22reduce_config_selectorIN6thrust23THRUST_200600_302600_NS5tupleIbffNS6_9null_typeES8_S8_S8_S8_S8_S8_EEEEZNS1_11reduce_implILb1ES3_NS6_11hip_rocprim26transform_input_iterator_tIS9_NS6_12zip_iteratorINS7_INS6_17counting_iteratorIiNS6_11use_defaultESG_SG_EENS6_6detail15normal_iteratorINS6_10device_ptrIfEEEES8_S8_S8_S8_S8_S8_S8_S8_EEEE15transform_tupleIifEEEPS9_S9_12reduce_tupleIifEEE10hipError_tPvRmT1_T2_T3_mT4_P12ihipStream_tbEUlT_E0_NS1_11comp_targetILNS1_3genE3ELNS1_11target_archE908ELNS1_3gpuE7ELNS1_3repE0EEENS1_30default_config_static_selectorELNS0_4arch9wavefront6targetE0EEEvSY_.uses_vcc, 0
	.set _ZN7rocprim17ROCPRIM_400000_NS6detail17trampoline_kernelINS0_14default_configENS1_22reduce_config_selectorIN6thrust23THRUST_200600_302600_NS5tupleIbffNS6_9null_typeES8_S8_S8_S8_S8_S8_EEEEZNS1_11reduce_implILb1ES3_NS6_11hip_rocprim26transform_input_iterator_tIS9_NS6_12zip_iteratorINS7_INS6_17counting_iteratorIiNS6_11use_defaultESG_SG_EENS6_6detail15normal_iteratorINS6_10device_ptrIfEEEES8_S8_S8_S8_S8_S8_S8_S8_EEEE15transform_tupleIifEEEPS9_S9_12reduce_tupleIifEEE10hipError_tPvRmT1_T2_T3_mT4_P12ihipStream_tbEUlT_E0_NS1_11comp_targetILNS1_3genE3ELNS1_11target_archE908ELNS1_3gpuE7ELNS1_3repE0EEENS1_30default_config_static_selectorELNS0_4arch9wavefront6targetE0EEEvSY_.uses_flat_scratch, 0
	.set _ZN7rocprim17ROCPRIM_400000_NS6detail17trampoline_kernelINS0_14default_configENS1_22reduce_config_selectorIN6thrust23THRUST_200600_302600_NS5tupleIbffNS6_9null_typeES8_S8_S8_S8_S8_S8_EEEEZNS1_11reduce_implILb1ES3_NS6_11hip_rocprim26transform_input_iterator_tIS9_NS6_12zip_iteratorINS7_INS6_17counting_iteratorIiNS6_11use_defaultESG_SG_EENS6_6detail15normal_iteratorINS6_10device_ptrIfEEEES8_S8_S8_S8_S8_S8_S8_S8_EEEE15transform_tupleIifEEEPS9_S9_12reduce_tupleIifEEE10hipError_tPvRmT1_T2_T3_mT4_P12ihipStream_tbEUlT_E0_NS1_11comp_targetILNS1_3genE3ELNS1_11target_archE908ELNS1_3gpuE7ELNS1_3repE0EEENS1_30default_config_static_selectorELNS0_4arch9wavefront6targetE0EEEvSY_.has_dyn_sized_stack, 0
	.set _ZN7rocprim17ROCPRIM_400000_NS6detail17trampoline_kernelINS0_14default_configENS1_22reduce_config_selectorIN6thrust23THRUST_200600_302600_NS5tupleIbffNS6_9null_typeES8_S8_S8_S8_S8_S8_EEEEZNS1_11reduce_implILb1ES3_NS6_11hip_rocprim26transform_input_iterator_tIS9_NS6_12zip_iteratorINS7_INS6_17counting_iteratorIiNS6_11use_defaultESG_SG_EENS6_6detail15normal_iteratorINS6_10device_ptrIfEEEES8_S8_S8_S8_S8_S8_S8_S8_EEEE15transform_tupleIifEEEPS9_S9_12reduce_tupleIifEEE10hipError_tPvRmT1_T2_T3_mT4_P12ihipStream_tbEUlT_E0_NS1_11comp_targetILNS1_3genE3ELNS1_11target_archE908ELNS1_3gpuE7ELNS1_3repE0EEENS1_30default_config_static_selectorELNS0_4arch9wavefront6targetE0EEEvSY_.has_recursion, 0
	.set _ZN7rocprim17ROCPRIM_400000_NS6detail17trampoline_kernelINS0_14default_configENS1_22reduce_config_selectorIN6thrust23THRUST_200600_302600_NS5tupleIbffNS6_9null_typeES8_S8_S8_S8_S8_S8_EEEEZNS1_11reduce_implILb1ES3_NS6_11hip_rocprim26transform_input_iterator_tIS9_NS6_12zip_iteratorINS7_INS6_17counting_iteratorIiNS6_11use_defaultESG_SG_EENS6_6detail15normal_iteratorINS6_10device_ptrIfEEEES8_S8_S8_S8_S8_S8_S8_S8_EEEE15transform_tupleIifEEEPS9_S9_12reduce_tupleIifEEE10hipError_tPvRmT1_T2_T3_mT4_P12ihipStream_tbEUlT_E0_NS1_11comp_targetILNS1_3genE3ELNS1_11target_archE908ELNS1_3gpuE7ELNS1_3repE0EEENS1_30default_config_static_selectorELNS0_4arch9wavefront6targetE0EEEvSY_.has_indirect_call, 0
	.section	.AMDGPU.csdata,"",@progbits
; Kernel info:
; codeLenInByte = 0
; TotalNumSgprs: 0
; NumVgprs: 0
; ScratchSize: 0
; MemoryBound: 0
; FloatMode: 240
; IeeeMode: 1
; LDSByteSize: 0 bytes/workgroup (compile time only)
; SGPRBlocks: 0
; VGPRBlocks: 0
; NumSGPRsForWavesPerEU: 1
; NumVGPRsForWavesPerEU: 1
; Occupancy: 16
; WaveLimiterHint : 0
; COMPUTE_PGM_RSRC2:SCRATCH_EN: 0
; COMPUTE_PGM_RSRC2:USER_SGPR: 6
; COMPUTE_PGM_RSRC2:TRAP_HANDLER: 0
; COMPUTE_PGM_RSRC2:TGID_X_EN: 1
; COMPUTE_PGM_RSRC2:TGID_Y_EN: 0
; COMPUTE_PGM_RSRC2:TGID_Z_EN: 0
; COMPUTE_PGM_RSRC2:TIDIG_COMP_CNT: 0
	.section	.text._ZN7rocprim17ROCPRIM_400000_NS6detail17trampoline_kernelINS0_14default_configENS1_22reduce_config_selectorIN6thrust23THRUST_200600_302600_NS5tupleIbffNS6_9null_typeES8_S8_S8_S8_S8_S8_EEEEZNS1_11reduce_implILb1ES3_NS6_11hip_rocprim26transform_input_iterator_tIS9_NS6_12zip_iteratorINS7_INS6_17counting_iteratorIiNS6_11use_defaultESG_SG_EENS6_6detail15normal_iteratorINS6_10device_ptrIfEEEES8_S8_S8_S8_S8_S8_S8_S8_EEEE15transform_tupleIifEEEPS9_S9_12reduce_tupleIifEEE10hipError_tPvRmT1_T2_T3_mT4_P12ihipStream_tbEUlT_E0_NS1_11comp_targetILNS1_3genE2ELNS1_11target_archE906ELNS1_3gpuE6ELNS1_3repE0EEENS1_30default_config_static_selectorELNS0_4arch9wavefront6targetE0EEEvSY_,"axG",@progbits,_ZN7rocprim17ROCPRIM_400000_NS6detail17trampoline_kernelINS0_14default_configENS1_22reduce_config_selectorIN6thrust23THRUST_200600_302600_NS5tupleIbffNS6_9null_typeES8_S8_S8_S8_S8_S8_EEEEZNS1_11reduce_implILb1ES3_NS6_11hip_rocprim26transform_input_iterator_tIS9_NS6_12zip_iteratorINS7_INS6_17counting_iteratorIiNS6_11use_defaultESG_SG_EENS6_6detail15normal_iteratorINS6_10device_ptrIfEEEES8_S8_S8_S8_S8_S8_S8_S8_EEEE15transform_tupleIifEEEPS9_S9_12reduce_tupleIifEEE10hipError_tPvRmT1_T2_T3_mT4_P12ihipStream_tbEUlT_E0_NS1_11comp_targetILNS1_3genE2ELNS1_11target_archE906ELNS1_3gpuE6ELNS1_3repE0EEENS1_30default_config_static_selectorELNS0_4arch9wavefront6targetE0EEEvSY_,comdat
	.protected	_ZN7rocprim17ROCPRIM_400000_NS6detail17trampoline_kernelINS0_14default_configENS1_22reduce_config_selectorIN6thrust23THRUST_200600_302600_NS5tupleIbffNS6_9null_typeES8_S8_S8_S8_S8_S8_EEEEZNS1_11reduce_implILb1ES3_NS6_11hip_rocprim26transform_input_iterator_tIS9_NS6_12zip_iteratorINS7_INS6_17counting_iteratorIiNS6_11use_defaultESG_SG_EENS6_6detail15normal_iteratorINS6_10device_ptrIfEEEES8_S8_S8_S8_S8_S8_S8_S8_EEEE15transform_tupleIifEEEPS9_S9_12reduce_tupleIifEEE10hipError_tPvRmT1_T2_T3_mT4_P12ihipStream_tbEUlT_E0_NS1_11comp_targetILNS1_3genE2ELNS1_11target_archE906ELNS1_3gpuE6ELNS1_3repE0EEENS1_30default_config_static_selectorELNS0_4arch9wavefront6targetE0EEEvSY_ ; -- Begin function _ZN7rocprim17ROCPRIM_400000_NS6detail17trampoline_kernelINS0_14default_configENS1_22reduce_config_selectorIN6thrust23THRUST_200600_302600_NS5tupleIbffNS6_9null_typeES8_S8_S8_S8_S8_S8_EEEEZNS1_11reduce_implILb1ES3_NS6_11hip_rocprim26transform_input_iterator_tIS9_NS6_12zip_iteratorINS7_INS6_17counting_iteratorIiNS6_11use_defaultESG_SG_EENS6_6detail15normal_iteratorINS6_10device_ptrIfEEEES8_S8_S8_S8_S8_S8_S8_S8_EEEE15transform_tupleIifEEEPS9_S9_12reduce_tupleIifEEE10hipError_tPvRmT1_T2_T3_mT4_P12ihipStream_tbEUlT_E0_NS1_11comp_targetILNS1_3genE2ELNS1_11target_archE906ELNS1_3gpuE6ELNS1_3repE0EEENS1_30default_config_static_selectorELNS0_4arch9wavefront6targetE0EEEvSY_
	.globl	_ZN7rocprim17ROCPRIM_400000_NS6detail17trampoline_kernelINS0_14default_configENS1_22reduce_config_selectorIN6thrust23THRUST_200600_302600_NS5tupleIbffNS6_9null_typeES8_S8_S8_S8_S8_S8_EEEEZNS1_11reduce_implILb1ES3_NS6_11hip_rocprim26transform_input_iterator_tIS9_NS6_12zip_iteratorINS7_INS6_17counting_iteratorIiNS6_11use_defaultESG_SG_EENS6_6detail15normal_iteratorINS6_10device_ptrIfEEEES8_S8_S8_S8_S8_S8_S8_S8_EEEE15transform_tupleIifEEEPS9_S9_12reduce_tupleIifEEE10hipError_tPvRmT1_T2_T3_mT4_P12ihipStream_tbEUlT_E0_NS1_11comp_targetILNS1_3genE2ELNS1_11target_archE906ELNS1_3gpuE6ELNS1_3repE0EEENS1_30default_config_static_selectorELNS0_4arch9wavefront6targetE0EEEvSY_
	.p2align	8
	.type	_ZN7rocprim17ROCPRIM_400000_NS6detail17trampoline_kernelINS0_14default_configENS1_22reduce_config_selectorIN6thrust23THRUST_200600_302600_NS5tupleIbffNS6_9null_typeES8_S8_S8_S8_S8_S8_EEEEZNS1_11reduce_implILb1ES3_NS6_11hip_rocprim26transform_input_iterator_tIS9_NS6_12zip_iteratorINS7_INS6_17counting_iteratorIiNS6_11use_defaultESG_SG_EENS6_6detail15normal_iteratorINS6_10device_ptrIfEEEES8_S8_S8_S8_S8_S8_S8_S8_EEEE15transform_tupleIifEEEPS9_S9_12reduce_tupleIifEEE10hipError_tPvRmT1_T2_T3_mT4_P12ihipStream_tbEUlT_E0_NS1_11comp_targetILNS1_3genE2ELNS1_11target_archE906ELNS1_3gpuE6ELNS1_3repE0EEENS1_30default_config_static_selectorELNS0_4arch9wavefront6targetE0EEEvSY_,@function
_ZN7rocprim17ROCPRIM_400000_NS6detail17trampoline_kernelINS0_14default_configENS1_22reduce_config_selectorIN6thrust23THRUST_200600_302600_NS5tupleIbffNS6_9null_typeES8_S8_S8_S8_S8_S8_EEEEZNS1_11reduce_implILb1ES3_NS6_11hip_rocprim26transform_input_iterator_tIS9_NS6_12zip_iteratorINS7_INS6_17counting_iteratorIiNS6_11use_defaultESG_SG_EENS6_6detail15normal_iteratorINS6_10device_ptrIfEEEES8_S8_S8_S8_S8_S8_S8_S8_EEEE15transform_tupleIifEEEPS9_S9_12reduce_tupleIifEEE10hipError_tPvRmT1_T2_T3_mT4_P12ihipStream_tbEUlT_E0_NS1_11comp_targetILNS1_3genE2ELNS1_11target_archE906ELNS1_3gpuE6ELNS1_3repE0EEENS1_30default_config_static_selectorELNS0_4arch9wavefront6targetE0EEEvSY_: ; @_ZN7rocprim17ROCPRIM_400000_NS6detail17trampoline_kernelINS0_14default_configENS1_22reduce_config_selectorIN6thrust23THRUST_200600_302600_NS5tupleIbffNS6_9null_typeES8_S8_S8_S8_S8_S8_EEEEZNS1_11reduce_implILb1ES3_NS6_11hip_rocprim26transform_input_iterator_tIS9_NS6_12zip_iteratorINS7_INS6_17counting_iteratorIiNS6_11use_defaultESG_SG_EENS6_6detail15normal_iteratorINS6_10device_ptrIfEEEES8_S8_S8_S8_S8_S8_S8_S8_EEEE15transform_tupleIifEEEPS9_S9_12reduce_tupleIifEEE10hipError_tPvRmT1_T2_T3_mT4_P12ihipStream_tbEUlT_E0_NS1_11comp_targetILNS1_3genE2ELNS1_11target_archE906ELNS1_3gpuE6ELNS1_3repE0EEENS1_30default_config_static_selectorELNS0_4arch9wavefront6targetE0EEEvSY_
; %bb.0:
	.section	.rodata,"a",@progbits
	.p2align	6, 0x0
	.amdhsa_kernel _ZN7rocprim17ROCPRIM_400000_NS6detail17trampoline_kernelINS0_14default_configENS1_22reduce_config_selectorIN6thrust23THRUST_200600_302600_NS5tupleIbffNS6_9null_typeES8_S8_S8_S8_S8_S8_EEEEZNS1_11reduce_implILb1ES3_NS6_11hip_rocprim26transform_input_iterator_tIS9_NS6_12zip_iteratorINS7_INS6_17counting_iteratorIiNS6_11use_defaultESG_SG_EENS6_6detail15normal_iteratorINS6_10device_ptrIfEEEES8_S8_S8_S8_S8_S8_S8_S8_EEEE15transform_tupleIifEEEPS9_S9_12reduce_tupleIifEEE10hipError_tPvRmT1_T2_T3_mT4_P12ihipStream_tbEUlT_E0_NS1_11comp_targetILNS1_3genE2ELNS1_11target_archE906ELNS1_3gpuE6ELNS1_3repE0EEENS1_30default_config_static_selectorELNS0_4arch9wavefront6targetE0EEEvSY_
		.amdhsa_group_segment_fixed_size 0
		.amdhsa_private_segment_fixed_size 0
		.amdhsa_kernarg_size 80
		.amdhsa_user_sgpr_count 6
		.amdhsa_user_sgpr_private_segment_buffer 1
		.amdhsa_user_sgpr_dispatch_ptr 0
		.amdhsa_user_sgpr_queue_ptr 0
		.amdhsa_user_sgpr_kernarg_segment_ptr 1
		.amdhsa_user_sgpr_dispatch_id 0
		.amdhsa_user_sgpr_flat_scratch_init 0
		.amdhsa_user_sgpr_private_segment_size 0
		.amdhsa_wavefront_size32 1
		.amdhsa_uses_dynamic_stack 0
		.amdhsa_system_sgpr_private_segment_wavefront_offset 0
		.amdhsa_system_sgpr_workgroup_id_x 1
		.amdhsa_system_sgpr_workgroup_id_y 0
		.amdhsa_system_sgpr_workgroup_id_z 0
		.amdhsa_system_sgpr_workgroup_info 0
		.amdhsa_system_vgpr_workitem_id 0
		.amdhsa_next_free_vgpr 1
		.amdhsa_next_free_sgpr 1
		.amdhsa_reserve_vcc 0
		.amdhsa_reserve_flat_scratch 0
		.amdhsa_float_round_mode_32 0
		.amdhsa_float_round_mode_16_64 0
		.amdhsa_float_denorm_mode_32 3
		.amdhsa_float_denorm_mode_16_64 3
		.amdhsa_dx10_clamp 1
		.amdhsa_ieee_mode 1
		.amdhsa_fp16_overflow 0
		.amdhsa_workgroup_processor_mode 1
		.amdhsa_memory_ordered 1
		.amdhsa_forward_progress 1
		.amdhsa_shared_vgpr_count 0
		.amdhsa_exception_fp_ieee_invalid_op 0
		.amdhsa_exception_fp_denorm_src 0
		.amdhsa_exception_fp_ieee_div_zero 0
		.amdhsa_exception_fp_ieee_overflow 0
		.amdhsa_exception_fp_ieee_underflow 0
		.amdhsa_exception_fp_ieee_inexact 0
		.amdhsa_exception_int_div_zero 0
	.end_amdhsa_kernel
	.section	.text._ZN7rocprim17ROCPRIM_400000_NS6detail17trampoline_kernelINS0_14default_configENS1_22reduce_config_selectorIN6thrust23THRUST_200600_302600_NS5tupleIbffNS6_9null_typeES8_S8_S8_S8_S8_S8_EEEEZNS1_11reduce_implILb1ES3_NS6_11hip_rocprim26transform_input_iterator_tIS9_NS6_12zip_iteratorINS7_INS6_17counting_iteratorIiNS6_11use_defaultESG_SG_EENS6_6detail15normal_iteratorINS6_10device_ptrIfEEEES8_S8_S8_S8_S8_S8_S8_S8_EEEE15transform_tupleIifEEEPS9_S9_12reduce_tupleIifEEE10hipError_tPvRmT1_T2_T3_mT4_P12ihipStream_tbEUlT_E0_NS1_11comp_targetILNS1_3genE2ELNS1_11target_archE906ELNS1_3gpuE6ELNS1_3repE0EEENS1_30default_config_static_selectorELNS0_4arch9wavefront6targetE0EEEvSY_,"axG",@progbits,_ZN7rocprim17ROCPRIM_400000_NS6detail17trampoline_kernelINS0_14default_configENS1_22reduce_config_selectorIN6thrust23THRUST_200600_302600_NS5tupleIbffNS6_9null_typeES8_S8_S8_S8_S8_S8_EEEEZNS1_11reduce_implILb1ES3_NS6_11hip_rocprim26transform_input_iterator_tIS9_NS6_12zip_iteratorINS7_INS6_17counting_iteratorIiNS6_11use_defaultESG_SG_EENS6_6detail15normal_iteratorINS6_10device_ptrIfEEEES8_S8_S8_S8_S8_S8_S8_S8_EEEE15transform_tupleIifEEEPS9_S9_12reduce_tupleIifEEE10hipError_tPvRmT1_T2_T3_mT4_P12ihipStream_tbEUlT_E0_NS1_11comp_targetILNS1_3genE2ELNS1_11target_archE906ELNS1_3gpuE6ELNS1_3repE0EEENS1_30default_config_static_selectorELNS0_4arch9wavefront6targetE0EEEvSY_,comdat
.Lfunc_end23:
	.size	_ZN7rocprim17ROCPRIM_400000_NS6detail17trampoline_kernelINS0_14default_configENS1_22reduce_config_selectorIN6thrust23THRUST_200600_302600_NS5tupleIbffNS6_9null_typeES8_S8_S8_S8_S8_S8_EEEEZNS1_11reduce_implILb1ES3_NS6_11hip_rocprim26transform_input_iterator_tIS9_NS6_12zip_iteratorINS7_INS6_17counting_iteratorIiNS6_11use_defaultESG_SG_EENS6_6detail15normal_iteratorINS6_10device_ptrIfEEEES8_S8_S8_S8_S8_S8_S8_S8_EEEE15transform_tupleIifEEEPS9_S9_12reduce_tupleIifEEE10hipError_tPvRmT1_T2_T3_mT4_P12ihipStream_tbEUlT_E0_NS1_11comp_targetILNS1_3genE2ELNS1_11target_archE906ELNS1_3gpuE6ELNS1_3repE0EEENS1_30default_config_static_selectorELNS0_4arch9wavefront6targetE0EEEvSY_, .Lfunc_end23-_ZN7rocprim17ROCPRIM_400000_NS6detail17trampoline_kernelINS0_14default_configENS1_22reduce_config_selectorIN6thrust23THRUST_200600_302600_NS5tupleIbffNS6_9null_typeES8_S8_S8_S8_S8_S8_EEEEZNS1_11reduce_implILb1ES3_NS6_11hip_rocprim26transform_input_iterator_tIS9_NS6_12zip_iteratorINS7_INS6_17counting_iteratorIiNS6_11use_defaultESG_SG_EENS6_6detail15normal_iteratorINS6_10device_ptrIfEEEES8_S8_S8_S8_S8_S8_S8_S8_EEEE15transform_tupleIifEEEPS9_S9_12reduce_tupleIifEEE10hipError_tPvRmT1_T2_T3_mT4_P12ihipStream_tbEUlT_E0_NS1_11comp_targetILNS1_3genE2ELNS1_11target_archE906ELNS1_3gpuE6ELNS1_3repE0EEENS1_30default_config_static_selectorELNS0_4arch9wavefront6targetE0EEEvSY_
                                        ; -- End function
	.set _ZN7rocprim17ROCPRIM_400000_NS6detail17trampoline_kernelINS0_14default_configENS1_22reduce_config_selectorIN6thrust23THRUST_200600_302600_NS5tupleIbffNS6_9null_typeES8_S8_S8_S8_S8_S8_EEEEZNS1_11reduce_implILb1ES3_NS6_11hip_rocprim26transform_input_iterator_tIS9_NS6_12zip_iteratorINS7_INS6_17counting_iteratorIiNS6_11use_defaultESG_SG_EENS6_6detail15normal_iteratorINS6_10device_ptrIfEEEES8_S8_S8_S8_S8_S8_S8_S8_EEEE15transform_tupleIifEEEPS9_S9_12reduce_tupleIifEEE10hipError_tPvRmT1_T2_T3_mT4_P12ihipStream_tbEUlT_E0_NS1_11comp_targetILNS1_3genE2ELNS1_11target_archE906ELNS1_3gpuE6ELNS1_3repE0EEENS1_30default_config_static_selectorELNS0_4arch9wavefront6targetE0EEEvSY_.num_vgpr, 0
	.set _ZN7rocprim17ROCPRIM_400000_NS6detail17trampoline_kernelINS0_14default_configENS1_22reduce_config_selectorIN6thrust23THRUST_200600_302600_NS5tupleIbffNS6_9null_typeES8_S8_S8_S8_S8_S8_EEEEZNS1_11reduce_implILb1ES3_NS6_11hip_rocprim26transform_input_iterator_tIS9_NS6_12zip_iteratorINS7_INS6_17counting_iteratorIiNS6_11use_defaultESG_SG_EENS6_6detail15normal_iteratorINS6_10device_ptrIfEEEES8_S8_S8_S8_S8_S8_S8_S8_EEEE15transform_tupleIifEEEPS9_S9_12reduce_tupleIifEEE10hipError_tPvRmT1_T2_T3_mT4_P12ihipStream_tbEUlT_E0_NS1_11comp_targetILNS1_3genE2ELNS1_11target_archE906ELNS1_3gpuE6ELNS1_3repE0EEENS1_30default_config_static_selectorELNS0_4arch9wavefront6targetE0EEEvSY_.num_agpr, 0
	.set _ZN7rocprim17ROCPRIM_400000_NS6detail17trampoline_kernelINS0_14default_configENS1_22reduce_config_selectorIN6thrust23THRUST_200600_302600_NS5tupleIbffNS6_9null_typeES8_S8_S8_S8_S8_S8_EEEEZNS1_11reduce_implILb1ES3_NS6_11hip_rocprim26transform_input_iterator_tIS9_NS6_12zip_iteratorINS7_INS6_17counting_iteratorIiNS6_11use_defaultESG_SG_EENS6_6detail15normal_iteratorINS6_10device_ptrIfEEEES8_S8_S8_S8_S8_S8_S8_S8_EEEE15transform_tupleIifEEEPS9_S9_12reduce_tupleIifEEE10hipError_tPvRmT1_T2_T3_mT4_P12ihipStream_tbEUlT_E0_NS1_11comp_targetILNS1_3genE2ELNS1_11target_archE906ELNS1_3gpuE6ELNS1_3repE0EEENS1_30default_config_static_selectorELNS0_4arch9wavefront6targetE0EEEvSY_.numbered_sgpr, 0
	.set _ZN7rocprim17ROCPRIM_400000_NS6detail17trampoline_kernelINS0_14default_configENS1_22reduce_config_selectorIN6thrust23THRUST_200600_302600_NS5tupleIbffNS6_9null_typeES8_S8_S8_S8_S8_S8_EEEEZNS1_11reduce_implILb1ES3_NS6_11hip_rocprim26transform_input_iterator_tIS9_NS6_12zip_iteratorINS7_INS6_17counting_iteratorIiNS6_11use_defaultESG_SG_EENS6_6detail15normal_iteratorINS6_10device_ptrIfEEEES8_S8_S8_S8_S8_S8_S8_S8_EEEE15transform_tupleIifEEEPS9_S9_12reduce_tupleIifEEE10hipError_tPvRmT1_T2_T3_mT4_P12ihipStream_tbEUlT_E0_NS1_11comp_targetILNS1_3genE2ELNS1_11target_archE906ELNS1_3gpuE6ELNS1_3repE0EEENS1_30default_config_static_selectorELNS0_4arch9wavefront6targetE0EEEvSY_.num_named_barrier, 0
	.set _ZN7rocprim17ROCPRIM_400000_NS6detail17trampoline_kernelINS0_14default_configENS1_22reduce_config_selectorIN6thrust23THRUST_200600_302600_NS5tupleIbffNS6_9null_typeES8_S8_S8_S8_S8_S8_EEEEZNS1_11reduce_implILb1ES3_NS6_11hip_rocprim26transform_input_iterator_tIS9_NS6_12zip_iteratorINS7_INS6_17counting_iteratorIiNS6_11use_defaultESG_SG_EENS6_6detail15normal_iteratorINS6_10device_ptrIfEEEES8_S8_S8_S8_S8_S8_S8_S8_EEEE15transform_tupleIifEEEPS9_S9_12reduce_tupleIifEEE10hipError_tPvRmT1_T2_T3_mT4_P12ihipStream_tbEUlT_E0_NS1_11comp_targetILNS1_3genE2ELNS1_11target_archE906ELNS1_3gpuE6ELNS1_3repE0EEENS1_30default_config_static_selectorELNS0_4arch9wavefront6targetE0EEEvSY_.private_seg_size, 0
	.set _ZN7rocprim17ROCPRIM_400000_NS6detail17trampoline_kernelINS0_14default_configENS1_22reduce_config_selectorIN6thrust23THRUST_200600_302600_NS5tupleIbffNS6_9null_typeES8_S8_S8_S8_S8_S8_EEEEZNS1_11reduce_implILb1ES3_NS6_11hip_rocprim26transform_input_iterator_tIS9_NS6_12zip_iteratorINS7_INS6_17counting_iteratorIiNS6_11use_defaultESG_SG_EENS6_6detail15normal_iteratorINS6_10device_ptrIfEEEES8_S8_S8_S8_S8_S8_S8_S8_EEEE15transform_tupleIifEEEPS9_S9_12reduce_tupleIifEEE10hipError_tPvRmT1_T2_T3_mT4_P12ihipStream_tbEUlT_E0_NS1_11comp_targetILNS1_3genE2ELNS1_11target_archE906ELNS1_3gpuE6ELNS1_3repE0EEENS1_30default_config_static_selectorELNS0_4arch9wavefront6targetE0EEEvSY_.uses_vcc, 0
	.set _ZN7rocprim17ROCPRIM_400000_NS6detail17trampoline_kernelINS0_14default_configENS1_22reduce_config_selectorIN6thrust23THRUST_200600_302600_NS5tupleIbffNS6_9null_typeES8_S8_S8_S8_S8_S8_EEEEZNS1_11reduce_implILb1ES3_NS6_11hip_rocprim26transform_input_iterator_tIS9_NS6_12zip_iteratorINS7_INS6_17counting_iteratorIiNS6_11use_defaultESG_SG_EENS6_6detail15normal_iteratorINS6_10device_ptrIfEEEES8_S8_S8_S8_S8_S8_S8_S8_EEEE15transform_tupleIifEEEPS9_S9_12reduce_tupleIifEEE10hipError_tPvRmT1_T2_T3_mT4_P12ihipStream_tbEUlT_E0_NS1_11comp_targetILNS1_3genE2ELNS1_11target_archE906ELNS1_3gpuE6ELNS1_3repE0EEENS1_30default_config_static_selectorELNS0_4arch9wavefront6targetE0EEEvSY_.uses_flat_scratch, 0
	.set _ZN7rocprim17ROCPRIM_400000_NS6detail17trampoline_kernelINS0_14default_configENS1_22reduce_config_selectorIN6thrust23THRUST_200600_302600_NS5tupleIbffNS6_9null_typeES8_S8_S8_S8_S8_S8_EEEEZNS1_11reduce_implILb1ES3_NS6_11hip_rocprim26transform_input_iterator_tIS9_NS6_12zip_iteratorINS7_INS6_17counting_iteratorIiNS6_11use_defaultESG_SG_EENS6_6detail15normal_iteratorINS6_10device_ptrIfEEEES8_S8_S8_S8_S8_S8_S8_S8_EEEE15transform_tupleIifEEEPS9_S9_12reduce_tupleIifEEE10hipError_tPvRmT1_T2_T3_mT4_P12ihipStream_tbEUlT_E0_NS1_11comp_targetILNS1_3genE2ELNS1_11target_archE906ELNS1_3gpuE6ELNS1_3repE0EEENS1_30default_config_static_selectorELNS0_4arch9wavefront6targetE0EEEvSY_.has_dyn_sized_stack, 0
	.set _ZN7rocprim17ROCPRIM_400000_NS6detail17trampoline_kernelINS0_14default_configENS1_22reduce_config_selectorIN6thrust23THRUST_200600_302600_NS5tupleIbffNS6_9null_typeES8_S8_S8_S8_S8_S8_EEEEZNS1_11reduce_implILb1ES3_NS6_11hip_rocprim26transform_input_iterator_tIS9_NS6_12zip_iteratorINS7_INS6_17counting_iteratorIiNS6_11use_defaultESG_SG_EENS6_6detail15normal_iteratorINS6_10device_ptrIfEEEES8_S8_S8_S8_S8_S8_S8_S8_EEEE15transform_tupleIifEEEPS9_S9_12reduce_tupleIifEEE10hipError_tPvRmT1_T2_T3_mT4_P12ihipStream_tbEUlT_E0_NS1_11comp_targetILNS1_3genE2ELNS1_11target_archE906ELNS1_3gpuE6ELNS1_3repE0EEENS1_30default_config_static_selectorELNS0_4arch9wavefront6targetE0EEEvSY_.has_recursion, 0
	.set _ZN7rocprim17ROCPRIM_400000_NS6detail17trampoline_kernelINS0_14default_configENS1_22reduce_config_selectorIN6thrust23THRUST_200600_302600_NS5tupleIbffNS6_9null_typeES8_S8_S8_S8_S8_S8_EEEEZNS1_11reduce_implILb1ES3_NS6_11hip_rocprim26transform_input_iterator_tIS9_NS6_12zip_iteratorINS7_INS6_17counting_iteratorIiNS6_11use_defaultESG_SG_EENS6_6detail15normal_iteratorINS6_10device_ptrIfEEEES8_S8_S8_S8_S8_S8_S8_S8_EEEE15transform_tupleIifEEEPS9_S9_12reduce_tupleIifEEE10hipError_tPvRmT1_T2_T3_mT4_P12ihipStream_tbEUlT_E0_NS1_11comp_targetILNS1_3genE2ELNS1_11target_archE906ELNS1_3gpuE6ELNS1_3repE0EEENS1_30default_config_static_selectorELNS0_4arch9wavefront6targetE0EEEvSY_.has_indirect_call, 0
	.section	.AMDGPU.csdata,"",@progbits
; Kernel info:
; codeLenInByte = 0
; TotalNumSgprs: 0
; NumVgprs: 0
; ScratchSize: 0
; MemoryBound: 0
; FloatMode: 240
; IeeeMode: 1
; LDSByteSize: 0 bytes/workgroup (compile time only)
; SGPRBlocks: 0
; VGPRBlocks: 0
; NumSGPRsForWavesPerEU: 1
; NumVGPRsForWavesPerEU: 1
; Occupancy: 16
; WaveLimiterHint : 0
; COMPUTE_PGM_RSRC2:SCRATCH_EN: 0
; COMPUTE_PGM_RSRC2:USER_SGPR: 6
; COMPUTE_PGM_RSRC2:TRAP_HANDLER: 0
; COMPUTE_PGM_RSRC2:TGID_X_EN: 1
; COMPUTE_PGM_RSRC2:TGID_Y_EN: 0
; COMPUTE_PGM_RSRC2:TGID_Z_EN: 0
; COMPUTE_PGM_RSRC2:TIDIG_COMP_CNT: 0
	.section	.text._ZN7rocprim17ROCPRIM_400000_NS6detail17trampoline_kernelINS0_14default_configENS1_22reduce_config_selectorIN6thrust23THRUST_200600_302600_NS5tupleIbffNS6_9null_typeES8_S8_S8_S8_S8_S8_EEEEZNS1_11reduce_implILb1ES3_NS6_11hip_rocprim26transform_input_iterator_tIS9_NS6_12zip_iteratorINS7_INS6_17counting_iteratorIiNS6_11use_defaultESG_SG_EENS6_6detail15normal_iteratorINS6_10device_ptrIfEEEES8_S8_S8_S8_S8_S8_S8_S8_EEEE15transform_tupleIifEEEPS9_S9_12reduce_tupleIifEEE10hipError_tPvRmT1_T2_T3_mT4_P12ihipStream_tbEUlT_E0_NS1_11comp_targetILNS1_3genE10ELNS1_11target_archE1201ELNS1_3gpuE5ELNS1_3repE0EEENS1_30default_config_static_selectorELNS0_4arch9wavefront6targetE0EEEvSY_,"axG",@progbits,_ZN7rocprim17ROCPRIM_400000_NS6detail17trampoline_kernelINS0_14default_configENS1_22reduce_config_selectorIN6thrust23THRUST_200600_302600_NS5tupleIbffNS6_9null_typeES8_S8_S8_S8_S8_S8_EEEEZNS1_11reduce_implILb1ES3_NS6_11hip_rocprim26transform_input_iterator_tIS9_NS6_12zip_iteratorINS7_INS6_17counting_iteratorIiNS6_11use_defaultESG_SG_EENS6_6detail15normal_iteratorINS6_10device_ptrIfEEEES8_S8_S8_S8_S8_S8_S8_S8_EEEE15transform_tupleIifEEEPS9_S9_12reduce_tupleIifEEE10hipError_tPvRmT1_T2_T3_mT4_P12ihipStream_tbEUlT_E0_NS1_11comp_targetILNS1_3genE10ELNS1_11target_archE1201ELNS1_3gpuE5ELNS1_3repE0EEENS1_30default_config_static_selectorELNS0_4arch9wavefront6targetE0EEEvSY_,comdat
	.protected	_ZN7rocprim17ROCPRIM_400000_NS6detail17trampoline_kernelINS0_14default_configENS1_22reduce_config_selectorIN6thrust23THRUST_200600_302600_NS5tupleIbffNS6_9null_typeES8_S8_S8_S8_S8_S8_EEEEZNS1_11reduce_implILb1ES3_NS6_11hip_rocprim26transform_input_iterator_tIS9_NS6_12zip_iteratorINS7_INS6_17counting_iteratorIiNS6_11use_defaultESG_SG_EENS6_6detail15normal_iteratorINS6_10device_ptrIfEEEES8_S8_S8_S8_S8_S8_S8_S8_EEEE15transform_tupleIifEEEPS9_S9_12reduce_tupleIifEEE10hipError_tPvRmT1_T2_T3_mT4_P12ihipStream_tbEUlT_E0_NS1_11comp_targetILNS1_3genE10ELNS1_11target_archE1201ELNS1_3gpuE5ELNS1_3repE0EEENS1_30default_config_static_selectorELNS0_4arch9wavefront6targetE0EEEvSY_ ; -- Begin function _ZN7rocprim17ROCPRIM_400000_NS6detail17trampoline_kernelINS0_14default_configENS1_22reduce_config_selectorIN6thrust23THRUST_200600_302600_NS5tupleIbffNS6_9null_typeES8_S8_S8_S8_S8_S8_EEEEZNS1_11reduce_implILb1ES3_NS6_11hip_rocprim26transform_input_iterator_tIS9_NS6_12zip_iteratorINS7_INS6_17counting_iteratorIiNS6_11use_defaultESG_SG_EENS6_6detail15normal_iteratorINS6_10device_ptrIfEEEES8_S8_S8_S8_S8_S8_S8_S8_EEEE15transform_tupleIifEEEPS9_S9_12reduce_tupleIifEEE10hipError_tPvRmT1_T2_T3_mT4_P12ihipStream_tbEUlT_E0_NS1_11comp_targetILNS1_3genE10ELNS1_11target_archE1201ELNS1_3gpuE5ELNS1_3repE0EEENS1_30default_config_static_selectorELNS0_4arch9wavefront6targetE0EEEvSY_
	.globl	_ZN7rocprim17ROCPRIM_400000_NS6detail17trampoline_kernelINS0_14default_configENS1_22reduce_config_selectorIN6thrust23THRUST_200600_302600_NS5tupleIbffNS6_9null_typeES8_S8_S8_S8_S8_S8_EEEEZNS1_11reduce_implILb1ES3_NS6_11hip_rocprim26transform_input_iterator_tIS9_NS6_12zip_iteratorINS7_INS6_17counting_iteratorIiNS6_11use_defaultESG_SG_EENS6_6detail15normal_iteratorINS6_10device_ptrIfEEEES8_S8_S8_S8_S8_S8_S8_S8_EEEE15transform_tupleIifEEEPS9_S9_12reduce_tupleIifEEE10hipError_tPvRmT1_T2_T3_mT4_P12ihipStream_tbEUlT_E0_NS1_11comp_targetILNS1_3genE10ELNS1_11target_archE1201ELNS1_3gpuE5ELNS1_3repE0EEENS1_30default_config_static_selectorELNS0_4arch9wavefront6targetE0EEEvSY_
	.p2align	8
	.type	_ZN7rocprim17ROCPRIM_400000_NS6detail17trampoline_kernelINS0_14default_configENS1_22reduce_config_selectorIN6thrust23THRUST_200600_302600_NS5tupleIbffNS6_9null_typeES8_S8_S8_S8_S8_S8_EEEEZNS1_11reduce_implILb1ES3_NS6_11hip_rocprim26transform_input_iterator_tIS9_NS6_12zip_iteratorINS7_INS6_17counting_iteratorIiNS6_11use_defaultESG_SG_EENS6_6detail15normal_iteratorINS6_10device_ptrIfEEEES8_S8_S8_S8_S8_S8_S8_S8_EEEE15transform_tupleIifEEEPS9_S9_12reduce_tupleIifEEE10hipError_tPvRmT1_T2_T3_mT4_P12ihipStream_tbEUlT_E0_NS1_11comp_targetILNS1_3genE10ELNS1_11target_archE1201ELNS1_3gpuE5ELNS1_3repE0EEENS1_30default_config_static_selectorELNS0_4arch9wavefront6targetE0EEEvSY_,@function
_ZN7rocprim17ROCPRIM_400000_NS6detail17trampoline_kernelINS0_14default_configENS1_22reduce_config_selectorIN6thrust23THRUST_200600_302600_NS5tupleIbffNS6_9null_typeES8_S8_S8_S8_S8_S8_EEEEZNS1_11reduce_implILb1ES3_NS6_11hip_rocprim26transform_input_iterator_tIS9_NS6_12zip_iteratorINS7_INS6_17counting_iteratorIiNS6_11use_defaultESG_SG_EENS6_6detail15normal_iteratorINS6_10device_ptrIfEEEES8_S8_S8_S8_S8_S8_S8_S8_EEEE15transform_tupleIifEEEPS9_S9_12reduce_tupleIifEEE10hipError_tPvRmT1_T2_T3_mT4_P12ihipStream_tbEUlT_E0_NS1_11comp_targetILNS1_3genE10ELNS1_11target_archE1201ELNS1_3gpuE5ELNS1_3repE0EEENS1_30default_config_static_selectorELNS0_4arch9wavefront6targetE0EEEvSY_: ; @_ZN7rocprim17ROCPRIM_400000_NS6detail17trampoline_kernelINS0_14default_configENS1_22reduce_config_selectorIN6thrust23THRUST_200600_302600_NS5tupleIbffNS6_9null_typeES8_S8_S8_S8_S8_S8_EEEEZNS1_11reduce_implILb1ES3_NS6_11hip_rocprim26transform_input_iterator_tIS9_NS6_12zip_iteratorINS7_INS6_17counting_iteratorIiNS6_11use_defaultESG_SG_EENS6_6detail15normal_iteratorINS6_10device_ptrIfEEEES8_S8_S8_S8_S8_S8_S8_S8_EEEE15transform_tupleIifEEEPS9_S9_12reduce_tupleIifEEE10hipError_tPvRmT1_T2_T3_mT4_P12ihipStream_tbEUlT_E0_NS1_11comp_targetILNS1_3genE10ELNS1_11target_archE1201ELNS1_3gpuE5ELNS1_3repE0EEENS1_30default_config_static_selectorELNS0_4arch9wavefront6targetE0EEEvSY_
; %bb.0:
	.section	.rodata,"a",@progbits
	.p2align	6, 0x0
	.amdhsa_kernel _ZN7rocprim17ROCPRIM_400000_NS6detail17trampoline_kernelINS0_14default_configENS1_22reduce_config_selectorIN6thrust23THRUST_200600_302600_NS5tupleIbffNS6_9null_typeES8_S8_S8_S8_S8_S8_EEEEZNS1_11reduce_implILb1ES3_NS6_11hip_rocprim26transform_input_iterator_tIS9_NS6_12zip_iteratorINS7_INS6_17counting_iteratorIiNS6_11use_defaultESG_SG_EENS6_6detail15normal_iteratorINS6_10device_ptrIfEEEES8_S8_S8_S8_S8_S8_S8_S8_EEEE15transform_tupleIifEEEPS9_S9_12reduce_tupleIifEEE10hipError_tPvRmT1_T2_T3_mT4_P12ihipStream_tbEUlT_E0_NS1_11comp_targetILNS1_3genE10ELNS1_11target_archE1201ELNS1_3gpuE5ELNS1_3repE0EEENS1_30default_config_static_selectorELNS0_4arch9wavefront6targetE0EEEvSY_
		.amdhsa_group_segment_fixed_size 0
		.amdhsa_private_segment_fixed_size 0
		.amdhsa_kernarg_size 80
		.amdhsa_user_sgpr_count 6
		.amdhsa_user_sgpr_private_segment_buffer 1
		.amdhsa_user_sgpr_dispatch_ptr 0
		.amdhsa_user_sgpr_queue_ptr 0
		.amdhsa_user_sgpr_kernarg_segment_ptr 1
		.amdhsa_user_sgpr_dispatch_id 0
		.amdhsa_user_sgpr_flat_scratch_init 0
		.amdhsa_user_sgpr_private_segment_size 0
		.amdhsa_wavefront_size32 1
		.amdhsa_uses_dynamic_stack 0
		.amdhsa_system_sgpr_private_segment_wavefront_offset 0
		.amdhsa_system_sgpr_workgroup_id_x 1
		.amdhsa_system_sgpr_workgroup_id_y 0
		.amdhsa_system_sgpr_workgroup_id_z 0
		.amdhsa_system_sgpr_workgroup_info 0
		.amdhsa_system_vgpr_workitem_id 0
		.amdhsa_next_free_vgpr 1
		.amdhsa_next_free_sgpr 1
		.amdhsa_reserve_vcc 0
		.amdhsa_reserve_flat_scratch 0
		.amdhsa_float_round_mode_32 0
		.amdhsa_float_round_mode_16_64 0
		.amdhsa_float_denorm_mode_32 3
		.amdhsa_float_denorm_mode_16_64 3
		.amdhsa_dx10_clamp 1
		.amdhsa_ieee_mode 1
		.amdhsa_fp16_overflow 0
		.amdhsa_workgroup_processor_mode 1
		.amdhsa_memory_ordered 1
		.amdhsa_forward_progress 1
		.amdhsa_shared_vgpr_count 0
		.amdhsa_exception_fp_ieee_invalid_op 0
		.amdhsa_exception_fp_denorm_src 0
		.amdhsa_exception_fp_ieee_div_zero 0
		.amdhsa_exception_fp_ieee_overflow 0
		.amdhsa_exception_fp_ieee_underflow 0
		.amdhsa_exception_fp_ieee_inexact 0
		.amdhsa_exception_int_div_zero 0
	.end_amdhsa_kernel
	.section	.text._ZN7rocprim17ROCPRIM_400000_NS6detail17trampoline_kernelINS0_14default_configENS1_22reduce_config_selectorIN6thrust23THRUST_200600_302600_NS5tupleIbffNS6_9null_typeES8_S8_S8_S8_S8_S8_EEEEZNS1_11reduce_implILb1ES3_NS6_11hip_rocprim26transform_input_iterator_tIS9_NS6_12zip_iteratorINS7_INS6_17counting_iteratorIiNS6_11use_defaultESG_SG_EENS6_6detail15normal_iteratorINS6_10device_ptrIfEEEES8_S8_S8_S8_S8_S8_S8_S8_EEEE15transform_tupleIifEEEPS9_S9_12reduce_tupleIifEEE10hipError_tPvRmT1_T2_T3_mT4_P12ihipStream_tbEUlT_E0_NS1_11comp_targetILNS1_3genE10ELNS1_11target_archE1201ELNS1_3gpuE5ELNS1_3repE0EEENS1_30default_config_static_selectorELNS0_4arch9wavefront6targetE0EEEvSY_,"axG",@progbits,_ZN7rocprim17ROCPRIM_400000_NS6detail17trampoline_kernelINS0_14default_configENS1_22reduce_config_selectorIN6thrust23THRUST_200600_302600_NS5tupleIbffNS6_9null_typeES8_S8_S8_S8_S8_S8_EEEEZNS1_11reduce_implILb1ES3_NS6_11hip_rocprim26transform_input_iterator_tIS9_NS6_12zip_iteratorINS7_INS6_17counting_iteratorIiNS6_11use_defaultESG_SG_EENS6_6detail15normal_iteratorINS6_10device_ptrIfEEEES8_S8_S8_S8_S8_S8_S8_S8_EEEE15transform_tupleIifEEEPS9_S9_12reduce_tupleIifEEE10hipError_tPvRmT1_T2_T3_mT4_P12ihipStream_tbEUlT_E0_NS1_11comp_targetILNS1_3genE10ELNS1_11target_archE1201ELNS1_3gpuE5ELNS1_3repE0EEENS1_30default_config_static_selectorELNS0_4arch9wavefront6targetE0EEEvSY_,comdat
.Lfunc_end24:
	.size	_ZN7rocprim17ROCPRIM_400000_NS6detail17trampoline_kernelINS0_14default_configENS1_22reduce_config_selectorIN6thrust23THRUST_200600_302600_NS5tupleIbffNS6_9null_typeES8_S8_S8_S8_S8_S8_EEEEZNS1_11reduce_implILb1ES3_NS6_11hip_rocprim26transform_input_iterator_tIS9_NS6_12zip_iteratorINS7_INS6_17counting_iteratorIiNS6_11use_defaultESG_SG_EENS6_6detail15normal_iteratorINS6_10device_ptrIfEEEES8_S8_S8_S8_S8_S8_S8_S8_EEEE15transform_tupleIifEEEPS9_S9_12reduce_tupleIifEEE10hipError_tPvRmT1_T2_T3_mT4_P12ihipStream_tbEUlT_E0_NS1_11comp_targetILNS1_3genE10ELNS1_11target_archE1201ELNS1_3gpuE5ELNS1_3repE0EEENS1_30default_config_static_selectorELNS0_4arch9wavefront6targetE0EEEvSY_, .Lfunc_end24-_ZN7rocprim17ROCPRIM_400000_NS6detail17trampoline_kernelINS0_14default_configENS1_22reduce_config_selectorIN6thrust23THRUST_200600_302600_NS5tupleIbffNS6_9null_typeES8_S8_S8_S8_S8_S8_EEEEZNS1_11reduce_implILb1ES3_NS6_11hip_rocprim26transform_input_iterator_tIS9_NS6_12zip_iteratorINS7_INS6_17counting_iteratorIiNS6_11use_defaultESG_SG_EENS6_6detail15normal_iteratorINS6_10device_ptrIfEEEES8_S8_S8_S8_S8_S8_S8_S8_EEEE15transform_tupleIifEEEPS9_S9_12reduce_tupleIifEEE10hipError_tPvRmT1_T2_T3_mT4_P12ihipStream_tbEUlT_E0_NS1_11comp_targetILNS1_3genE10ELNS1_11target_archE1201ELNS1_3gpuE5ELNS1_3repE0EEENS1_30default_config_static_selectorELNS0_4arch9wavefront6targetE0EEEvSY_
                                        ; -- End function
	.set _ZN7rocprim17ROCPRIM_400000_NS6detail17trampoline_kernelINS0_14default_configENS1_22reduce_config_selectorIN6thrust23THRUST_200600_302600_NS5tupleIbffNS6_9null_typeES8_S8_S8_S8_S8_S8_EEEEZNS1_11reduce_implILb1ES3_NS6_11hip_rocprim26transform_input_iterator_tIS9_NS6_12zip_iteratorINS7_INS6_17counting_iteratorIiNS6_11use_defaultESG_SG_EENS6_6detail15normal_iteratorINS6_10device_ptrIfEEEES8_S8_S8_S8_S8_S8_S8_S8_EEEE15transform_tupleIifEEEPS9_S9_12reduce_tupleIifEEE10hipError_tPvRmT1_T2_T3_mT4_P12ihipStream_tbEUlT_E0_NS1_11comp_targetILNS1_3genE10ELNS1_11target_archE1201ELNS1_3gpuE5ELNS1_3repE0EEENS1_30default_config_static_selectorELNS0_4arch9wavefront6targetE0EEEvSY_.num_vgpr, 0
	.set _ZN7rocprim17ROCPRIM_400000_NS6detail17trampoline_kernelINS0_14default_configENS1_22reduce_config_selectorIN6thrust23THRUST_200600_302600_NS5tupleIbffNS6_9null_typeES8_S8_S8_S8_S8_S8_EEEEZNS1_11reduce_implILb1ES3_NS6_11hip_rocprim26transform_input_iterator_tIS9_NS6_12zip_iteratorINS7_INS6_17counting_iteratorIiNS6_11use_defaultESG_SG_EENS6_6detail15normal_iteratorINS6_10device_ptrIfEEEES8_S8_S8_S8_S8_S8_S8_S8_EEEE15transform_tupleIifEEEPS9_S9_12reduce_tupleIifEEE10hipError_tPvRmT1_T2_T3_mT4_P12ihipStream_tbEUlT_E0_NS1_11comp_targetILNS1_3genE10ELNS1_11target_archE1201ELNS1_3gpuE5ELNS1_3repE0EEENS1_30default_config_static_selectorELNS0_4arch9wavefront6targetE0EEEvSY_.num_agpr, 0
	.set _ZN7rocprim17ROCPRIM_400000_NS6detail17trampoline_kernelINS0_14default_configENS1_22reduce_config_selectorIN6thrust23THRUST_200600_302600_NS5tupleIbffNS6_9null_typeES8_S8_S8_S8_S8_S8_EEEEZNS1_11reduce_implILb1ES3_NS6_11hip_rocprim26transform_input_iterator_tIS9_NS6_12zip_iteratorINS7_INS6_17counting_iteratorIiNS6_11use_defaultESG_SG_EENS6_6detail15normal_iteratorINS6_10device_ptrIfEEEES8_S8_S8_S8_S8_S8_S8_S8_EEEE15transform_tupleIifEEEPS9_S9_12reduce_tupleIifEEE10hipError_tPvRmT1_T2_T3_mT4_P12ihipStream_tbEUlT_E0_NS1_11comp_targetILNS1_3genE10ELNS1_11target_archE1201ELNS1_3gpuE5ELNS1_3repE0EEENS1_30default_config_static_selectorELNS0_4arch9wavefront6targetE0EEEvSY_.numbered_sgpr, 0
	.set _ZN7rocprim17ROCPRIM_400000_NS6detail17trampoline_kernelINS0_14default_configENS1_22reduce_config_selectorIN6thrust23THRUST_200600_302600_NS5tupleIbffNS6_9null_typeES8_S8_S8_S8_S8_S8_EEEEZNS1_11reduce_implILb1ES3_NS6_11hip_rocprim26transform_input_iterator_tIS9_NS6_12zip_iteratorINS7_INS6_17counting_iteratorIiNS6_11use_defaultESG_SG_EENS6_6detail15normal_iteratorINS6_10device_ptrIfEEEES8_S8_S8_S8_S8_S8_S8_S8_EEEE15transform_tupleIifEEEPS9_S9_12reduce_tupleIifEEE10hipError_tPvRmT1_T2_T3_mT4_P12ihipStream_tbEUlT_E0_NS1_11comp_targetILNS1_3genE10ELNS1_11target_archE1201ELNS1_3gpuE5ELNS1_3repE0EEENS1_30default_config_static_selectorELNS0_4arch9wavefront6targetE0EEEvSY_.num_named_barrier, 0
	.set _ZN7rocprim17ROCPRIM_400000_NS6detail17trampoline_kernelINS0_14default_configENS1_22reduce_config_selectorIN6thrust23THRUST_200600_302600_NS5tupleIbffNS6_9null_typeES8_S8_S8_S8_S8_S8_EEEEZNS1_11reduce_implILb1ES3_NS6_11hip_rocprim26transform_input_iterator_tIS9_NS6_12zip_iteratorINS7_INS6_17counting_iteratorIiNS6_11use_defaultESG_SG_EENS6_6detail15normal_iteratorINS6_10device_ptrIfEEEES8_S8_S8_S8_S8_S8_S8_S8_EEEE15transform_tupleIifEEEPS9_S9_12reduce_tupleIifEEE10hipError_tPvRmT1_T2_T3_mT4_P12ihipStream_tbEUlT_E0_NS1_11comp_targetILNS1_3genE10ELNS1_11target_archE1201ELNS1_3gpuE5ELNS1_3repE0EEENS1_30default_config_static_selectorELNS0_4arch9wavefront6targetE0EEEvSY_.private_seg_size, 0
	.set _ZN7rocprim17ROCPRIM_400000_NS6detail17trampoline_kernelINS0_14default_configENS1_22reduce_config_selectorIN6thrust23THRUST_200600_302600_NS5tupleIbffNS6_9null_typeES8_S8_S8_S8_S8_S8_EEEEZNS1_11reduce_implILb1ES3_NS6_11hip_rocprim26transform_input_iterator_tIS9_NS6_12zip_iteratorINS7_INS6_17counting_iteratorIiNS6_11use_defaultESG_SG_EENS6_6detail15normal_iteratorINS6_10device_ptrIfEEEES8_S8_S8_S8_S8_S8_S8_S8_EEEE15transform_tupleIifEEEPS9_S9_12reduce_tupleIifEEE10hipError_tPvRmT1_T2_T3_mT4_P12ihipStream_tbEUlT_E0_NS1_11comp_targetILNS1_3genE10ELNS1_11target_archE1201ELNS1_3gpuE5ELNS1_3repE0EEENS1_30default_config_static_selectorELNS0_4arch9wavefront6targetE0EEEvSY_.uses_vcc, 0
	.set _ZN7rocprim17ROCPRIM_400000_NS6detail17trampoline_kernelINS0_14default_configENS1_22reduce_config_selectorIN6thrust23THRUST_200600_302600_NS5tupleIbffNS6_9null_typeES8_S8_S8_S8_S8_S8_EEEEZNS1_11reduce_implILb1ES3_NS6_11hip_rocprim26transform_input_iterator_tIS9_NS6_12zip_iteratorINS7_INS6_17counting_iteratorIiNS6_11use_defaultESG_SG_EENS6_6detail15normal_iteratorINS6_10device_ptrIfEEEES8_S8_S8_S8_S8_S8_S8_S8_EEEE15transform_tupleIifEEEPS9_S9_12reduce_tupleIifEEE10hipError_tPvRmT1_T2_T3_mT4_P12ihipStream_tbEUlT_E0_NS1_11comp_targetILNS1_3genE10ELNS1_11target_archE1201ELNS1_3gpuE5ELNS1_3repE0EEENS1_30default_config_static_selectorELNS0_4arch9wavefront6targetE0EEEvSY_.uses_flat_scratch, 0
	.set _ZN7rocprim17ROCPRIM_400000_NS6detail17trampoline_kernelINS0_14default_configENS1_22reduce_config_selectorIN6thrust23THRUST_200600_302600_NS5tupleIbffNS6_9null_typeES8_S8_S8_S8_S8_S8_EEEEZNS1_11reduce_implILb1ES3_NS6_11hip_rocprim26transform_input_iterator_tIS9_NS6_12zip_iteratorINS7_INS6_17counting_iteratorIiNS6_11use_defaultESG_SG_EENS6_6detail15normal_iteratorINS6_10device_ptrIfEEEES8_S8_S8_S8_S8_S8_S8_S8_EEEE15transform_tupleIifEEEPS9_S9_12reduce_tupleIifEEE10hipError_tPvRmT1_T2_T3_mT4_P12ihipStream_tbEUlT_E0_NS1_11comp_targetILNS1_3genE10ELNS1_11target_archE1201ELNS1_3gpuE5ELNS1_3repE0EEENS1_30default_config_static_selectorELNS0_4arch9wavefront6targetE0EEEvSY_.has_dyn_sized_stack, 0
	.set _ZN7rocprim17ROCPRIM_400000_NS6detail17trampoline_kernelINS0_14default_configENS1_22reduce_config_selectorIN6thrust23THRUST_200600_302600_NS5tupleIbffNS6_9null_typeES8_S8_S8_S8_S8_S8_EEEEZNS1_11reduce_implILb1ES3_NS6_11hip_rocprim26transform_input_iterator_tIS9_NS6_12zip_iteratorINS7_INS6_17counting_iteratorIiNS6_11use_defaultESG_SG_EENS6_6detail15normal_iteratorINS6_10device_ptrIfEEEES8_S8_S8_S8_S8_S8_S8_S8_EEEE15transform_tupleIifEEEPS9_S9_12reduce_tupleIifEEE10hipError_tPvRmT1_T2_T3_mT4_P12ihipStream_tbEUlT_E0_NS1_11comp_targetILNS1_3genE10ELNS1_11target_archE1201ELNS1_3gpuE5ELNS1_3repE0EEENS1_30default_config_static_selectorELNS0_4arch9wavefront6targetE0EEEvSY_.has_recursion, 0
	.set _ZN7rocprim17ROCPRIM_400000_NS6detail17trampoline_kernelINS0_14default_configENS1_22reduce_config_selectorIN6thrust23THRUST_200600_302600_NS5tupleIbffNS6_9null_typeES8_S8_S8_S8_S8_S8_EEEEZNS1_11reduce_implILb1ES3_NS6_11hip_rocprim26transform_input_iterator_tIS9_NS6_12zip_iteratorINS7_INS6_17counting_iteratorIiNS6_11use_defaultESG_SG_EENS6_6detail15normal_iteratorINS6_10device_ptrIfEEEES8_S8_S8_S8_S8_S8_S8_S8_EEEE15transform_tupleIifEEEPS9_S9_12reduce_tupleIifEEE10hipError_tPvRmT1_T2_T3_mT4_P12ihipStream_tbEUlT_E0_NS1_11comp_targetILNS1_3genE10ELNS1_11target_archE1201ELNS1_3gpuE5ELNS1_3repE0EEENS1_30default_config_static_selectorELNS0_4arch9wavefront6targetE0EEEvSY_.has_indirect_call, 0
	.section	.AMDGPU.csdata,"",@progbits
; Kernel info:
; codeLenInByte = 0
; TotalNumSgprs: 0
; NumVgprs: 0
; ScratchSize: 0
; MemoryBound: 0
; FloatMode: 240
; IeeeMode: 1
; LDSByteSize: 0 bytes/workgroup (compile time only)
; SGPRBlocks: 0
; VGPRBlocks: 0
; NumSGPRsForWavesPerEU: 1
; NumVGPRsForWavesPerEU: 1
; Occupancy: 16
; WaveLimiterHint : 0
; COMPUTE_PGM_RSRC2:SCRATCH_EN: 0
; COMPUTE_PGM_RSRC2:USER_SGPR: 6
; COMPUTE_PGM_RSRC2:TRAP_HANDLER: 0
; COMPUTE_PGM_RSRC2:TGID_X_EN: 1
; COMPUTE_PGM_RSRC2:TGID_Y_EN: 0
; COMPUTE_PGM_RSRC2:TGID_Z_EN: 0
; COMPUTE_PGM_RSRC2:TIDIG_COMP_CNT: 0
	.section	.text._ZN7rocprim17ROCPRIM_400000_NS6detail17trampoline_kernelINS0_14default_configENS1_22reduce_config_selectorIN6thrust23THRUST_200600_302600_NS5tupleIbffNS6_9null_typeES8_S8_S8_S8_S8_S8_EEEEZNS1_11reduce_implILb1ES3_NS6_11hip_rocprim26transform_input_iterator_tIS9_NS6_12zip_iteratorINS7_INS6_17counting_iteratorIiNS6_11use_defaultESG_SG_EENS6_6detail15normal_iteratorINS6_10device_ptrIfEEEES8_S8_S8_S8_S8_S8_S8_S8_EEEE15transform_tupleIifEEEPS9_S9_12reduce_tupleIifEEE10hipError_tPvRmT1_T2_T3_mT4_P12ihipStream_tbEUlT_E0_NS1_11comp_targetILNS1_3genE10ELNS1_11target_archE1200ELNS1_3gpuE4ELNS1_3repE0EEENS1_30default_config_static_selectorELNS0_4arch9wavefront6targetE0EEEvSY_,"axG",@progbits,_ZN7rocprim17ROCPRIM_400000_NS6detail17trampoline_kernelINS0_14default_configENS1_22reduce_config_selectorIN6thrust23THRUST_200600_302600_NS5tupleIbffNS6_9null_typeES8_S8_S8_S8_S8_S8_EEEEZNS1_11reduce_implILb1ES3_NS6_11hip_rocprim26transform_input_iterator_tIS9_NS6_12zip_iteratorINS7_INS6_17counting_iteratorIiNS6_11use_defaultESG_SG_EENS6_6detail15normal_iteratorINS6_10device_ptrIfEEEES8_S8_S8_S8_S8_S8_S8_S8_EEEE15transform_tupleIifEEEPS9_S9_12reduce_tupleIifEEE10hipError_tPvRmT1_T2_T3_mT4_P12ihipStream_tbEUlT_E0_NS1_11comp_targetILNS1_3genE10ELNS1_11target_archE1200ELNS1_3gpuE4ELNS1_3repE0EEENS1_30default_config_static_selectorELNS0_4arch9wavefront6targetE0EEEvSY_,comdat
	.protected	_ZN7rocprim17ROCPRIM_400000_NS6detail17trampoline_kernelINS0_14default_configENS1_22reduce_config_selectorIN6thrust23THRUST_200600_302600_NS5tupleIbffNS6_9null_typeES8_S8_S8_S8_S8_S8_EEEEZNS1_11reduce_implILb1ES3_NS6_11hip_rocprim26transform_input_iterator_tIS9_NS6_12zip_iteratorINS7_INS6_17counting_iteratorIiNS6_11use_defaultESG_SG_EENS6_6detail15normal_iteratorINS6_10device_ptrIfEEEES8_S8_S8_S8_S8_S8_S8_S8_EEEE15transform_tupleIifEEEPS9_S9_12reduce_tupleIifEEE10hipError_tPvRmT1_T2_T3_mT4_P12ihipStream_tbEUlT_E0_NS1_11comp_targetILNS1_3genE10ELNS1_11target_archE1200ELNS1_3gpuE4ELNS1_3repE0EEENS1_30default_config_static_selectorELNS0_4arch9wavefront6targetE0EEEvSY_ ; -- Begin function _ZN7rocprim17ROCPRIM_400000_NS6detail17trampoline_kernelINS0_14default_configENS1_22reduce_config_selectorIN6thrust23THRUST_200600_302600_NS5tupleIbffNS6_9null_typeES8_S8_S8_S8_S8_S8_EEEEZNS1_11reduce_implILb1ES3_NS6_11hip_rocprim26transform_input_iterator_tIS9_NS6_12zip_iteratorINS7_INS6_17counting_iteratorIiNS6_11use_defaultESG_SG_EENS6_6detail15normal_iteratorINS6_10device_ptrIfEEEES8_S8_S8_S8_S8_S8_S8_S8_EEEE15transform_tupleIifEEEPS9_S9_12reduce_tupleIifEEE10hipError_tPvRmT1_T2_T3_mT4_P12ihipStream_tbEUlT_E0_NS1_11comp_targetILNS1_3genE10ELNS1_11target_archE1200ELNS1_3gpuE4ELNS1_3repE0EEENS1_30default_config_static_selectorELNS0_4arch9wavefront6targetE0EEEvSY_
	.globl	_ZN7rocprim17ROCPRIM_400000_NS6detail17trampoline_kernelINS0_14default_configENS1_22reduce_config_selectorIN6thrust23THRUST_200600_302600_NS5tupleIbffNS6_9null_typeES8_S8_S8_S8_S8_S8_EEEEZNS1_11reduce_implILb1ES3_NS6_11hip_rocprim26transform_input_iterator_tIS9_NS6_12zip_iteratorINS7_INS6_17counting_iteratorIiNS6_11use_defaultESG_SG_EENS6_6detail15normal_iteratorINS6_10device_ptrIfEEEES8_S8_S8_S8_S8_S8_S8_S8_EEEE15transform_tupleIifEEEPS9_S9_12reduce_tupleIifEEE10hipError_tPvRmT1_T2_T3_mT4_P12ihipStream_tbEUlT_E0_NS1_11comp_targetILNS1_3genE10ELNS1_11target_archE1200ELNS1_3gpuE4ELNS1_3repE0EEENS1_30default_config_static_selectorELNS0_4arch9wavefront6targetE0EEEvSY_
	.p2align	8
	.type	_ZN7rocprim17ROCPRIM_400000_NS6detail17trampoline_kernelINS0_14default_configENS1_22reduce_config_selectorIN6thrust23THRUST_200600_302600_NS5tupleIbffNS6_9null_typeES8_S8_S8_S8_S8_S8_EEEEZNS1_11reduce_implILb1ES3_NS6_11hip_rocprim26transform_input_iterator_tIS9_NS6_12zip_iteratorINS7_INS6_17counting_iteratorIiNS6_11use_defaultESG_SG_EENS6_6detail15normal_iteratorINS6_10device_ptrIfEEEES8_S8_S8_S8_S8_S8_S8_S8_EEEE15transform_tupleIifEEEPS9_S9_12reduce_tupleIifEEE10hipError_tPvRmT1_T2_T3_mT4_P12ihipStream_tbEUlT_E0_NS1_11comp_targetILNS1_3genE10ELNS1_11target_archE1200ELNS1_3gpuE4ELNS1_3repE0EEENS1_30default_config_static_selectorELNS0_4arch9wavefront6targetE0EEEvSY_,@function
_ZN7rocprim17ROCPRIM_400000_NS6detail17trampoline_kernelINS0_14default_configENS1_22reduce_config_selectorIN6thrust23THRUST_200600_302600_NS5tupleIbffNS6_9null_typeES8_S8_S8_S8_S8_S8_EEEEZNS1_11reduce_implILb1ES3_NS6_11hip_rocprim26transform_input_iterator_tIS9_NS6_12zip_iteratorINS7_INS6_17counting_iteratorIiNS6_11use_defaultESG_SG_EENS6_6detail15normal_iteratorINS6_10device_ptrIfEEEES8_S8_S8_S8_S8_S8_S8_S8_EEEE15transform_tupleIifEEEPS9_S9_12reduce_tupleIifEEE10hipError_tPvRmT1_T2_T3_mT4_P12ihipStream_tbEUlT_E0_NS1_11comp_targetILNS1_3genE10ELNS1_11target_archE1200ELNS1_3gpuE4ELNS1_3repE0EEENS1_30default_config_static_selectorELNS0_4arch9wavefront6targetE0EEEvSY_: ; @_ZN7rocprim17ROCPRIM_400000_NS6detail17trampoline_kernelINS0_14default_configENS1_22reduce_config_selectorIN6thrust23THRUST_200600_302600_NS5tupleIbffNS6_9null_typeES8_S8_S8_S8_S8_S8_EEEEZNS1_11reduce_implILb1ES3_NS6_11hip_rocprim26transform_input_iterator_tIS9_NS6_12zip_iteratorINS7_INS6_17counting_iteratorIiNS6_11use_defaultESG_SG_EENS6_6detail15normal_iteratorINS6_10device_ptrIfEEEES8_S8_S8_S8_S8_S8_S8_S8_EEEE15transform_tupleIifEEEPS9_S9_12reduce_tupleIifEEE10hipError_tPvRmT1_T2_T3_mT4_P12ihipStream_tbEUlT_E0_NS1_11comp_targetILNS1_3genE10ELNS1_11target_archE1200ELNS1_3gpuE4ELNS1_3repE0EEENS1_30default_config_static_selectorELNS0_4arch9wavefront6targetE0EEEvSY_
; %bb.0:
	.section	.rodata,"a",@progbits
	.p2align	6, 0x0
	.amdhsa_kernel _ZN7rocprim17ROCPRIM_400000_NS6detail17trampoline_kernelINS0_14default_configENS1_22reduce_config_selectorIN6thrust23THRUST_200600_302600_NS5tupleIbffNS6_9null_typeES8_S8_S8_S8_S8_S8_EEEEZNS1_11reduce_implILb1ES3_NS6_11hip_rocprim26transform_input_iterator_tIS9_NS6_12zip_iteratorINS7_INS6_17counting_iteratorIiNS6_11use_defaultESG_SG_EENS6_6detail15normal_iteratorINS6_10device_ptrIfEEEES8_S8_S8_S8_S8_S8_S8_S8_EEEE15transform_tupleIifEEEPS9_S9_12reduce_tupleIifEEE10hipError_tPvRmT1_T2_T3_mT4_P12ihipStream_tbEUlT_E0_NS1_11comp_targetILNS1_3genE10ELNS1_11target_archE1200ELNS1_3gpuE4ELNS1_3repE0EEENS1_30default_config_static_selectorELNS0_4arch9wavefront6targetE0EEEvSY_
		.amdhsa_group_segment_fixed_size 0
		.amdhsa_private_segment_fixed_size 0
		.amdhsa_kernarg_size 80
		.amdhsa_user_sgpr_count 6
		.amdhsa_user_sgpr_private_segment_buffer 1
		.amdhsa_user_sgpr_dispatch_ptr 0
		.amdhsa_user_sgpr_queue_ptr 0
		.amdhsa_user_sgpr_kernarg_segment_ptr 1
		.amdhsa_user_sgpr_dispatch_id 0
		.amdhsa_user_sgpr_flat_scratch_init 0
		.amdhsa_user_sgpr_private_segment_size 0
		.amdhsa_wavefront_size32 1
		.amdhsa_uses_dynamic_stack 0
		.amdhsa_system_sgpr_private_segment_wavefront_offset 0
		.amdhsa_system_sgpr_workgroup_id_x 1
		.amdhsa_system_sgpr_workgroup_id_y 0
		.amdhsa_system_sgpr_workgroup_id_z 0
		.amdhsa_system_sgpr_workgroup_info 0
		.amdhsa_system_vgpr_workitem_id 0
		.amdhsa_next_free_vgpr 1
		.amdhsa_next_free_sgpr 1
		.amdhsa_reserve_vcc 0
		.amdhsa_reserve_flat_scratch 0
		.amdhsa_float_round_mode_32 0
		.amdhsa_float_round_mode_16_64 0
		.amdhsa_float_denorm_mode_32 3
		.amdhsa_float_denorm_mode_16_64 3
		.amdhsa_dx10_clamp 1
		.amdhsa_ieee_mode 1
		.amdhsa_fp16_overflow 0
		.amdhsa_workgroup_processor_mode 1
		.amdhsa_memory_ordered 1
		.amdhsa_forward_progress 1
		.amdhsa_shared_vgpr_count 0
		.amdhsa_exception_fp_ieee_invalid_op 0
		.amdhsa_exception_fp_denorm_src 0
		.amdhsa_exception_fp_ieee_div_zero 0
		.amdhsa_exception_fp_ieee_overflow 0
		.amdhsa_exception_fp_ieee_underflow 0
		.amdhsa_exception_fp_ieee_inexact 0
		.amdhsa_exception_int_div_zero 0
	.end_amdhsa_kernel
	.section	.text._ZN7rocprim17ROCPRIM_400000_NS6detail17trampoline_kernelINS0_14default_configENS1_22reduce_config_selectorIN6thrust23THRUST_200600_302600_NS5tupleIbffNS6_9null_typeES8_S8_S8_S8_S8_S8_EEEEZNS1_11reduce_implILb1ES3_NS6_11hip_rocprim26transform_input_iterator_tIS9_NS6_12zip_iteratorINS7_INS6_17counting_iteratorIiNS6_11use_defaultESG_SG_EENS6_6detail15normal_iteratorINS6_10device_ptrIfEEEES8_S8_S8_S8_S8_S8_S8_S8_EEEE15transform_tupleIifEEEPS9_S9_12reduce_tupleIifEEE10hipError_tPvRmT1_T2_T3_mT4_P12ihipStream_tbEUlT_E0_NS1_11comp_targetILNS1_3genE10ELNS1_11target_archE1200ELNS1_3gpuE4ELNS1_3repE0EEENS1_30default_config_static_selectorELNS0_4arch9wavefront6targetE0EEEvSY_,"axG",@progbits,_ZN7rocprim17ROCPRIM_400000_NS6detail17trampoline_kernelINS0_14default_configENS1_22reduce_config_selectorIN6thrust23THRUST_200600_302600_NS5tupleIbffNS6_9null_typeES8_S8_S8_S8_S8_S8_EEEEZNS1_11reduce_implILb1ES3_NS6_11hip_rocprim26transform_input_iterator_tIS9_NS6_12zip_iteratorINS7_INS6_17counting_iteratorIiNS6_11use_defaultESG_SG_EENS6_6detail15normal_iteratorINS6_10device_ptrIfEEEES8_S8_S8_S8_S8_S8_S8_S8_EEEE15transform_tupleIifEEEPS9_S9_12reduce_tupleIifEEE10hipError_tPvRmT1_T2_T3_mT4_P12ihipStream_tbEUlT_E0_NS1_11comp_targetILNS1_3genE10ELNS1_11target_archE1200ELNS1_3gpuE4ELNS1_3repE0EEENS1_30default_config_static_selectorELNS0_4arch9wavefront6targetE0EEEvSY_,comdat
.Lfunc_end25:
	.size	_ZN7rocprim17ROCPRIM_400000_NS6detail17trampoline_kernelINS0_14default_configENS1_22reduce_config_selectorIN6thrust23THRUST_200600_302600_NS5tupleIbffNS6_9null_typeES8_S8_S8_S8_S8_S8_EEEEZNS1_11reduce_implILb1ES3_NS6_11hip_rocprim26transform_input_iterator_tIS9_NS6_12zip_iteratorINS7_INS6_17counting_iteratorIiNS6_11use_defaultESG_SG_EENS6_6detail15normal_iteratorINS6_10device_ptrIfEEEES8_S8_S8_S8_S8_S8_S8_S8_EEEE15transform_tupleIifEEEPS9_S9_12reduce_tupleIifEEE10hipError_tPvRmT1_T2_T3_mT4_P12ihipStream_tbEUlT_E0_NS1_11comp_targetILNS1_3genE10ELNS1_11target_archE1200ELNS1_3gpuE4ELNS1_3repE0EEENS1_30default_config_static_selectorELNS0_4arch9wavefront6targetE0EEEvSY_, .Lfunc_end25-_ZN7rocprim17ROCPRIM_400000_NS6detail17trampoline_kernelINS0_14default_configENS1_22reduce_config_selectorIN6thrust23THRUST_200600_302600_NS5tupleIbffNS6_9null_typeES8_S8_S8_S8_S8_S8_EEEEZNS1_11reduce_implILb1ES3_NS6_11hip_rocprim26transform_input_iterator_tIS9_NS6_12zip_iteratorINS7_INS6_17counting_iteratorIiNS6_11use_defaultESG_SG_EENS6_6detail15normal_iteratorINS6_10device_ptrIfEEEES8_S8_S8_S8_S8_S8_S8_S8_EEEE15transform_tupleIifEEEPS9_S9_12reduce_tupleIifEEE10hipError_tPvRmT1_T2_T3_mT4_P12ihipStream_tbEUlT_E0_NS1_11comp_targetILNS1_3genE10ELNS1_11target_archE1200ELNS1_3gpuE4ELNS1_3repE0EEENS1_30default_config_static_selectorELNS0_4arch9wavefront6targetE0EEEvSY_
                                        ; -- End function
	.set _ZN7rocprim17ROCPRIM_400000_NS6detail17trampoline_kernelINS0_14default_configENS1_22reduce_config_selectorIN6thrust23THRUST_200600_302600_NS5tupleIbffNS6_9null_typeES8_S8_S8_S8_S8_S8_EEEEZNS1_11reduce_implILb1ES3_NS6_11hip_rocprim26transform_input_iterator_tIS9_NS6_12zip_iteratorINS7_INS6_17counting_iteratorIiNS6_11use_defaultESG_SG_EENS6_6detail15normal_iteratorINS6_10device_ptrIfEEEES8_S8_S8_S8_S8_S8_S8_S8_EEEE15transform_tupleIifEEEPS9_S9_12reduce_tupleIifEEE10hipError_tPvRmT1_T2_T3_mT4_P12ihipStream_tbEUlT_E0_NS1_11comp_targetILNS1_3genE10ELNS1_11target_archE1200ELNS1_3gpuE4ELNS1_3repE0EEENS1_30default_config_static_selectorELNS0_4arch9wavefront6targetE0EEEvSY_.num_vgpr, 0
	.set _ZN7rocprim17ROCPRIM_400000_NS6detail17trampoline_kernelINS0_14default_configENS1_22reduce_config_selectorIN6thrust23THRUST_200600_302600_NS5tupleIbffNS6_9null_typeES8_S8_S8_S8_S8_S8_EEEEZNS1_11reduce_implILb1ES3_NS6_11hip_rocprim26transform_input_iterator_tIS9_NS6_12zip_iteratorINS7_INS6_17counting_iteratorIiNS6_11use_defaultESG_SG_EENS6_6detail15normal_iteratorINS6_10device_ptrIfEEEES8_S8_S8_S8_S8_S8_S8_S8_EEEE15transform_tupleIifEEEPS9_S9_12reduce_tupleIifEEE10hipError_tPvRmT1_T2_T3_mT4_P12ihipStream_tbEUlT_E0_NS1_11comp_targetILNS1_3genE10ELNS1_11target_archE1200ELNS1_3gpuE4ELNS1_3repE0EEENS1_30default_config_static_selectorELNS0_4arch9wavefront6targetE0EEEvSY_.num_agpr, 0
	.set _ZN7rocprim17ROCPRIM_400000_NS6detail17trampoline_kernelINS0_14default_configENS1_22reduce_config_selectorIN6thrust23THRUST_200600_302600_NS5tupleIbffNS6_9null_typeES8_S8_S8_S8_S8_S8_EEEEZNS1_11reduce_implILb1ES3_NS6_11hip_rocprim26transform_input_iterator_tIS9_NS6_12zip_iteratorINS7_INS6_17counting_iteratorIiNS6_11use_defaultESG_SG_EENS6_6detail15normal_iteratorINS6_10device_ptrIfEEEES8_S8_S8_S8_S8_S8_S8_S8_EEEE15transform_tupleIifEEEPS9_S9_12reduce_tupleIifEEE10hipError_tPvRmT1_T2_T3_mT4_P12ihipStream_tbEUlT_E0_NS1_11comp_targetILNS1_3genE10ELNS1_11target_archE1200ELNS1_3gpuE4ELNS1_3repE0EEENS1_30default_config_static_selectorELNS0_4arch9wavefront6targetE0EEEvSY_.numbered_sgpr, 0
	.set _ZN7rocprim17ROCPRIM_400000_NS6detail17trampoline_kernelINS0_14default_configENS1_22reduce_config_selectorIN6thrust23THRUST_200600_302600_NS5tupleIbffNS6_9null_typeES8_S8_S8_S8_S8_S8_EEEEZNS1_11reduce_implILb1ES3_NS6_11hip_rocprim26transform_input_iterator_tIS9_NS6_12zip_iteratorINS7_INS6_17counting_iteratorIiNS6_11use_defaultESG_SG_EENS6_6detail15normal_iteratorINS6_10device_ptrIfEEEES8_S8_S8_S8_S8_S8_S8_S8_EEEE15transform_tupleIifEEEPS9_S9_12reduce_tupleIifEEE10hipError_tPvRmT1_T2_T3_mT4_P12ihipStream_tbEUlT_E0_NS1_11comp_targetILNS1_3genE10ELNS1_11target_archE1200ELNS1_3gpuE4ELNS1_3repE0EEENS1_30default_config_static_selectorELNS0_4arch9wavefront6targetE0EEEvSY_.num_named_barrier, 0
	.set _ZN7rocprim17ROCPRIM_400000_NS6detail17trampoline_kernelINS0_14default_configENS1_22reduce_config_selectorIN6thrust23THRUST_200600_302600_NS5tupleIbffNS6_9null_typeES8_S8_S8_S8_S8_S8_EEEEZNS1_11reduce_implILb1ES3_NS6_11hip_rocprim26transform_input_iterator_tIS9_NS6_12zip_iteratorINS7_INS6_17counting_iteratorIiNS6_11use_defaultESG_SG_EENS6_6detail15normal_iteratorINS6_10device_ptrIfEEEES8_S8_S8_S8_S8_S8_S8_S8_EEEE15transform_tupleIifEEEPS9_S9_12reduce_tupleIifEEE10hipError_tPvRmT1_T2_T3_mT4_P12ihipStream_tbEUlT_E0_NS1_11comp_targetILNS1_3genE10ELNS1_11target_archE1200ELNS1_3gpuE4ELNS1_3repE0EEENS1_30default_config_static_selectorELNS0_4arch9wavefront6targetE0EEEvSY_.private_seg_size, 0
	.set _ZN7rocprim17ROCPRIM_400000_NS6detail17trampoline_kernelINS0_14default_configENS1_22reduce_config_selectorIN6thrust23THRUST_200600_302600_NS5tupleIbffNS6_9null_typeES8_S8_S8_S8_S8_S8_EEEEZNS1_11reduce_implILb1ES3_NS6_11hip_rocprim26transform_input_iterator_tIS9_NS6_12zip_iteratorINS7_INS6_17counting_iteratorIiNS6_11use_defaultESG_SG_EENS6_6detail15normal_iteratorINS6_10device_ptrIfEEEES8_S8_S8_S8_S8_S8_S8_S8_EEEE15transform_tupleIifEEEPS9_S9_12reduce_tupleIifEEE10hipError_tPvRmT1_T2_T3_mT4_P12ihipStream_tbEUlT_E0_NS1_11comp_targetILNS1_3genE10ELNS1_11target_archE1200ELNS1_3gpuE4ELNS1_3repE0EEENS1_30default_config_static_selectorELNS0_4arch9wavefront6targetE0EEEvSY_.uses_vcc, 0
	.set _ZN7rocprim17ROCPRIM_400000_NS6detail17trampoline_kernelINS0_14default_configENS1_22reduce_config_selectorIN6thrust23THRUST_200600_302600_NS5tupleIbffNS6_9null_typeES8_S8_S8_S8_S8_S8_EEEEZNS1_11reduce_implILb1ES3_NS6_11hip_rocprim26transform_input_iterator_tIS9_NS6_12zip_iteratorINS7_INS6_17counting_iteratorIiNS6_11use_defaultESG_SG_EENS6_6detail15normal_iteratorINS6_10device_ptrIfEEEES8_S8_S8_S8_S8_S8_S8_S8_EEEE15transform_tupleIifEEEPS9_S9_12reduce_tupleIifEEE10hipError_tPvRmT1_T2_T3_mT4_P12ihipStream_tbEUlT_E0_NS1_11comp_targetILNS1_3genE10ELNS1_11target_archE1200ELNS1_3gpuE4ELNS1_3repE0EEENS1_30default_config_static_selectorELNS0_4arch9wavefront6targetE0EEEvSY_.uses_flat_scratch, 0
	.set _ZN7rocprim17ROCPRIM_400000_NS6detail17trampoline_kernelINS0_14default_configENS1_22reduce_config_selectorIN6thrust23THRUST_200600_302600_NS5tupleIbffNS6_9null_typeES8_S8_S8_S8_S8_S8_EEEEZNS1_11reduce_implILb1ES3_NS6_11hip_rocprim26transform_input_iterator_tIS9_NS6_12zip_iteratorINS7_INS6_17counting_iteratorIiNS6_11use_defaultESG_SG_EENS6_6detail15normal_iteratorINS6_10device_ptrIfEEEES8_S8_S8_S8_S8_S8_S8_S8_EEEE15transform_tupleIifEEEPS9_S9_12reduce_tupleIifEEE10hipError_tPvRmT1_T2_T3_mT4_P12ihipStream_tbEUlT_E0_NS1_11comp_targetILNS1_3genE10ELNS1_11target_archE1200ELNS1_3gpuE4ELNS1_3repE0EEENS1_30default_config_static_selectorELNS0_4arch9wavefront6targetE0EEEvSY_.has_dyn_sized_stack, 0
	.set _ZN7rocprim17ROCPRIM_400000_NS6detail17trampoline_kernelINS0_14default_configENS1_22reduce_config_selectorIN6thrust23THRUST_200600_302600_NS5tupleIbffNS6_9null_typeES8_S8_S8_S8_S8_S8_EEEEZNS1_11reduce_implILb1ES3_NS6_11hip_rocprim26transform_input_iterator_tIS9_NS6_12zip_iteratorINS7_INS6_17counting_iteratorIiNS6_11use_defaultESG_SG_EENS6_6detail15normal_iteratorINS6_10device_ptrIfEEEES8_S8_S8_S8_S8_S8_S8_S8_EEEE15transform_tupleIifEEEPS9_S9_12reduce_tupleIifEEE10hipError_tPvRmT1_T2_T3_mT4_P12ihipStream_tbEUlT_E0_NS1_11comp_targetILNS1_3genE10ELNS1_11target_archE1200ELNS1_3gpuE4ELNS1_3repE0EEENS1_30default_config_static_selectorELNS0_4arch9wavefront6targetE0EEEvSY_.has_recursion, 0
	.set _ZN7rocprim17ROCPRIM_400000_NS6detail17trampoline_kernelINS0_14default_configENS1_22reduce_config_selectorIN6thrust23THRUST_200600_302600_NS5tupleIbffNS6_9null_typeES8_S8_S8_S8_S8_S8_EEEEZNS1_11reduce_implILb1ES3_NS6_11hip_rocprim26transform_input_iterator_tIS9_NS6_12zip_iteratorINS7_INS6_17counting_iteratorIiNS6_11use_defaultESG_SG_EENS6_6detail15normal_iteratorINS6_10device_ptrIfEEEES8_S8_S8_S8_S8_S8_S8_S8_EEEE15transform_tupleIifEEEPS9_S9_12reduce_tupleIifEEE10hipError_tPvRmT1_T2_T3_mT4_P12ihipStream_tbEUlT_E0_NS1_11comp_targetILNS1_3genE10ELNS1_11target_archE1200ELNS1_3gpuE4ELNS1_3repE0EEENS1_30default_config_static_selectorELNS0_4arch9wavefront6targetE0EEEvSY_.has_indirect_call, 0
	.section	.AMDGPU.csdata,"",@progbits
; Kernel info:
; codeLenInByte = 0
; TotalNumSgprs: 0
; NumVgprs: 0
; ScratchSize: 0
; MemoryBound: 0
; FloatMode: 240
; IeeeMode: 1
; LDSByteSize: 0 bytes/workgroup (compile time only)
; SGPRBlocks: 0
; VGPRBlocks: 0
; NumSGPRsForWavesPerEU: 1
; NumVGPRsForWavesPerEU: 1
; Occupancy: 16
; WaveLimiterHint : 0
; COMPUTE_PGM_RSRC2:SCRATCH_EN: 0
; COMPUTE_PGM_RSRC2:USER_SGPR: 6
; COMPUTE_PGM_RSRC2:TRAP_HANDLER: 0
; COMPUTE_PGM_RSRC2:TGID_X_EN: 1
; COMPUTE_PGM_RSRC2:TGID_Y_EN: 0
; COMPUTE_PGM_RSRC2:TGID_Z_EN: 0
; COMPUTE_PGM_RSRC2:TIDIG_COMP_CNT: 0
	.section	.text._ZN7rocprim17ROCPRIM_400000_NS6detail17trampoline_kernelINS0_14default_configENS1_22reduce_config_selectorIN6thrust23THRUST_200600_302600_NS5tupleIbffNS6_9null_typeES8_S8_S8_S8_S8_S8_EEEEZNS1_11reduce_implILb1ES3_NS6_11hip_rocprim26transform_input_iterator_tIS9_NS6_12zip_iteratorINS7_INS6_17counting_iteratorIiNS6_11use_defaultESG_SG_EENS6_6detail15normal_iteratorINS6_10device_ptrIfEEEES8_S8_S8_S8_S8_S8_S8_S8_EEEE15transform_tupleIifEEEPS9_S9_12reduce_tupleIifEEE10hipError_tPvRmT1_T2_T3_mT4_P12ihipStream_tbEUlT_E0_NS1_11comp_targetILNS1_3genE9ELNS1_11target_archE1100ELNS1_3gpuE3ELNS1_3repE0EEENS1_30default_config_static_selectorELNS0_4arch9wavefront6targetE0EEEvSY_,"axG",@progbits,_ZN7rocprim17ROCPRIM_400000_NS6detail17trampoline_kernelINS0_14default_configENS1_22reduce_config_selectorIN6thrust23THRUST_200600_302600_NS5tupleIbffNS6_9null_typeES8_S8_S8_S8_S8_S8_EEEEZNS1_11reduce_implILb1ES3_NS6_11hip_rocprim26transform_input_iterator_tIS9_NS6_12zip_iteratorINS7_INS6_17counting_iteratorIiNS6_11use_defaultESG_SG_EENS6_6detail15normal_iteratorINS6_10device_ptrIfEEEES8_S8_S8_S8_S8_S8_S8_S8_EEEE15transform_tupleIifEEEPS9_S9_12reduce_tupleIifEEE10hipError_tPvRmT1_T2_T3_mT4_P12ihipStream_tbEUlT_E0_NS1_11comp_targetILNS1_3genE9ELNS1_11target_archE1100ELNS1_3gpuE3ELNS1_3repE0EEENS1_30default_config_static_selectorELNS0_4arch9wavefront6targetE0EEEvSY_,comdat
	.protected	_ZN7rocprim17ROCPRIM_400000_NS6detail17trampoline_kernelINS0_14default_configENS1_22reduce_config_selectorIN6thrust23THRUST_200600_302600_NS5tupleIbffNS6_9null_typeES8_S8_S8_S8_S8_S8_EEEEZNS1_11reduce_implILb1ES3_NS6_11hip_rocprim26transform_input_iterator_tIS9_NS6_12zip_iteratorINS7_INS6_17counting_iteratorIiNS6_11use_defaultESG_SG_EENS6_6detail15normal_iteratorINS6_10device_ptrIfEEEES8_S8_S8_S8_S8_S8_S8_S8_EEEE15transform_tupleIifEEEPS9_S9_12reduce_tupleIifEEE10hipError_tPvRmT1_T2_T3_mT4_P12ihipStream_tbEUlT_E0_NS1_11comp_targetILNS1_3genE9ELNS1_11target_archE1100ELNS1_3gpuE3ELNS1_3repE0EEENS1_30default_config_static_selectorELNS0_4arch9wavefront6targetE0EEEvSY_ ; -- Begin function _ZN7rocprim17ROCPRIM_400000_NS6detail17trampoline_kernelINS0_14default_configENS1_22reduce_config_selectorIN6thrust23THRUST_200600_302600_NS5tupleIbffNS6_9null_typeES8_S8_S8_S8_S8_S8_EEEEZNS1_11reduce_implILb1ES3_NS6_11hip_rocprim26transform_input_iterator_tIS9_NS6_12zip_iteratorINS7_INS6_17counting_iteratorIiNS6_11use_defaultESG_SG_EENS6_6detail15normal_iteratorINS6_10device_ptrIfEEEES8_S8_S8_S8_S8_S8_S8_S8_EEEE15transform_tupleIifEEEPS9_S9_12reduce_tupleIifEEE10hipError_tPvRmT1_T2_T3_mT4_P12ihipStream_tbEUlT_E0_NS1_11comp_targetILNS1_3genE9ELNS1_11target_archE1100ELNS1_3gpuE3ELNS1_3repE0EEENS1_30default_config_static_selectorELNS0_4arch9wavefront6targetE0EEEvSY_
	.globl	_ZN7rocprim17ROCPRIM_400000_NS6detail17trampoline_kernelINS0_14default_configENS1_22reduce_config_selectorIN6thrust23THRUST_200600_302600_NS5tupleIbffNS6_9null_typeES8_S8_S8_S8_S8_S8_EEEEZNS1_11reduce_implILb1ES3_NS6_11hip_rocprim26transform_input_iterator_tIS9_NS6_12zip_iteratorINS7_INS6_17counting_iteratorIiNS6_11use_defaultESG_SG_EENS6_6detail15normal_iteratorINS6_10device_ptrIfEEEES8_S8_S8_S8_S8_S8_S8_S8_EEEE15transform_tupleIifEEEPS9_S9_12reduce_tupleIifEEE10hipError_tPvRmT1_T2_T3_mT4_P12ihipStream_tbEUlT_E0_NS1_11comp_targetILNS1_3genE9ELNS1_11target_archE1100ELNS1_3gpuE3ELNS1_3repE0EEENS1_30default_config_static_selectorELNS0_4arch9wavefront6targetE0EEEvSY_
	.p2align	8
	.type	_ZN7rocprim17ROCPRIM_400000_NS6detail17trampoline_kernelINS0_14default_configENS1_22reduce_config_selectorIN6thrust23THRUST_200600_302600_NS5tupleIbffNS6_9null_typeES8_S8_S8_S8_S8_S8_EEEEZNS1_11reduce_implILb1ES3_NS6_11hip_rocprim26transform_input_iterator_tIS9_NS6_12zip_iteratorINS7_INS6_17counting_iteratorIiNS6_11use_defaultESG_SG_EENS6_6detail15normal_iteratorINS6_10device_ptrIfEEEES8_S8_S8_S8_S8_S8_S8_S8_EEEE15transform_tupleIifEEEPS9_S9_12reduce_tupleIifEEE10hipError_tPvRmT1_T2_T3_mT4_P12ihipStream_tbEUlT_E0_NS1_11comp_targetILNS1_3genE9ELNS1_11target_archE1100ELNS1_3gpuE3ELNS1_3repE0EEENS1_30default_config_static_selectorELNS0_4arch9wavefront6targetE0EEEvSY_,@function
_ZN7rocprim17ROCPRIM_400000_NS6detail17trampoline_kernelINS0_14default_configENS1_22reduce_config_selectorIN6thrust23THRUST_200600_302600_NS5tupleIbffNS6_9null_typeES8_S8_S8_S8_S8_S8_EEEEZNS1_11reduce_implILb1ES3_NS6_11hip_rocprim26transform_input_iterator_tIS9_NS6_12zip_iteratorINS7_INS6_17counting_iteratorIiNS6_11use_defaultESG_SG_EENS6_6detail15normal_iteratorINS6_10device_ptrIfEEEES8_S8_S8_S8_S8_S8_S8_S8_EEEE15transform_tupleIifEEEPS9_S9_12reduce_tupleIifEEE10hipError_tPvRmT1_T2_T3_mT4_P12ihipStream_tbEUlT_E0_NS1_11comp_targetILNS1_3genE9ELNS1_11target_archE1100ELNS1_3gpuE3ELNS1_3repE0EEENS1_30default_config_static_selectorELNS0_4arch9wavefront6targetE0EEEvSY_: ; @_ZN7rocprim17ROCPRIM_400000_NS6detail17trampoline_kernelINS0_14default_configENS1_22reduce_config_selectorIN6thrust23THRUST_200600_302600_NS5tupleIbffNS6_9null_typeES8_S8_S8_S8_S8_S8_EEEEZNS1_11reduce_implILb1ES3_NS6_11hip_rocprim26transform_input_iterator_tIS9_NS6_12zip_iteratorINS7_INS6_17counting_iteratorIiNS6_11use_defaultESG_SG_EENS6_6detail15normal_iteratorINS6_10device_ptrIfEEEES8_S8_S8_S8_S8_S8_S8_S8_EEEE15transform_tupleIifEEEPS9_S9_12reduce_tupleIifEEE10hipError_tPvRmT1_T2_T3_mT4_P12ihipStream_tbEUlT_E0_NS1_11comp_targetILNS1_3genE9ELNS1_11target_archE1100ELNS1_3gpuE3ELNS1_3repE0EEENS1_30default_config_static_selectorELNS0_4arch9wavefront6targetE0EEEvSY_
; %bb.0:
	.section	.rodata,"a",@progbits
	.p2align	6, 0x0
	.amdhsa_kernel _ZN7rocprim17ROCPRIM_400000_NS6detail17trampoline_kernelINS0_14default_configENS1_22reduce_config_selectorIN6thrust23THRUST_200600_302600_NS5tupleIbffNS6_9null_typeES8_S8_S8_S8_S8_S8_EEEEZNS1_11reduce_implILb1ES3_NS6_11hip_rocprim26transform_input_iterator_tIS9_NS6_12zip_iteratorINS7_INS6_17counting_iteratorIiNS6_11use_defaultESG_SG_EENS6_6detail15normal_iteratorINS6_10device_ptrIfEEEES8_S8_S8_S8_S8_S8_S8_S8_EEEE15transform_tupleIifEEEPS9_S9_12reduce_tupleIifEEE10hipError_tPvRmT1_T2_T3_mT4_P12ihipStream_tbEUlT_E0_NS1_11comp_targetILNS1_3genE9ELNS1_11target_archE1100ELNS1_3gpuE3ELNS1_3repE0EEENS1_30default_config_static_selectorELNS0_4arch9wavefront6targetE0EEEvSY_
		.amdhsa_group_segment_fixed_size 0
		.amdhsa_private_segment_fixed_size 0
		.amdhsa_kernarg_size 80
		.amdhsa_user_sgpr_count 6
		.amdhsa_user_sgpr_private_segment_buffer 1
		.amdhsa_user_sgpr_dispatch_ptr 0
		.amdhsa_user_sgpr_queue_ptr 0
		.amdhsa_user_sgpr_kernarg_segment_ptr 1
		.amdhsa_user_sgpr_dispatch_id 0
		.amdhsa_user_sgpr_flat_scratch_init 0
		.amdhsa_user_sgpr_private_segment_size 0
		.amdhsa_wavefront_size32 1
		.amdhsa_uses_dynamic_stack 0
		.amdhsa_system_sgpr_private_segment_wavefront_offset 0
		.amdhsa_system_sgpr_workgroup_id_x 1
		.amdhsa_system_sgpr_workgroup_id_y 0
		.amdhsa_system_sgpr_workgroup_id_z 0
		.amdhsa_system_sgpr_workgroup_info 0
		.amdhsa_system_vgpr_workitem_id 0
		.amdhsa_next_free_vgpr 1
		.amdhsa_next_free_sgpr 1
		.amdhsa_reserve_vcc 0
		.amdhsa_reserve_flat_scratch 0
		.amdhsa_float_round_mode_32 0
		.amdhsa_float_round_mode_16_64 0
		.amdhsa_float_denorm_mode_32 3
		.amdhsa_float_denorm_mode_16_64 3
		.amdhsa_dx10_clamp 1
		.amdhsa_ieee_mode 1
		.amdhsa_fp16_overflow 0
		.amdhsa_workgroup_processor_mode 1
		.amdhsa_memory_ordered 1
		.amdhsa_forward_progress 1
		.amdhsa_shared_vgpr_count 0
		.amdhsa_exception_fp_ieee_invalid_op 0
		.amdhsa_exception_fp_denorm_src 0
		.amdhsa_exception_fp_ieee_div_zero 0
		.amdhsa_exception_fp_ieee_overflow 0
		.amdhsa_exception_fp_ieee_underflow 0
		.amdhsa_exception_fp_ieee_inexact 0
		.amdhsa_exception_int_div_zero 0
	.end_amdhsa_kernel
	.section	.text._ZN7rocprim17ROCPRIM_400000_NS6detail17trampoline_kernelINS0_14default_configENS1_22reduce_config_selectorIN6thrust23THRUST_200600_302600_NS5tupleIbffNS6_9null_typeES8_S8_S8_S8_S8_S8_EEEEZNS1_11reduce_implILb1ES3_NS6_11hip_rocprim26transform_input_iterator_tIS9_NS6_12zip_iteratorINS7_INS6_17counting_iteratorIiNS6_11use_defaultESG_SG_EENS6_6detail15normal_iteratorINS6_10device_ptrIfEEEES8_S8_S8_S8_S8_S8_S8_S8_EEEE15transform_tupleIifEEEPS9_S9_12reduce_tupleIifEEE10hipError_tPvRmT1_T2_T3_mT4_P12ihipStream_tbEUlT_E0_NS1_11comp_targetILNS1_3genE9ELNS1_11target_archE1100ELNS1_3gpuE3ELNS1_3repE0EEENS1_30default_config_static_selectorELNS0_4arch9wavefront6targetE0EEEvSY_,"axG",@progbits,_ZN7rocprim17ROCPRIM_400000_NS6detail17trampoline_kernelINS0_14default_configENS1_22reduce_config_selectorIN6thrust23THRUST_200600_302600_NS5tupleIbffNS6_9null_typeES8_S8_S8_S8_S8_S8_EEEEZNS1_11reduce_implILb1ES3_NS6_11hip_rocprim26transform_input_iterator_tIS9_NS6_12zip_iteratorINS7_INS6_17counting_iteratorIiNS6_11use_defaultESG_SG_EENS6_6detail15normal_iteratorINS6_10device_ptrIfEEEES8_S8_S8_S8_S8_S8_S8_S8_EEEE15transform_tupleIifEEEPS9_S9_12reduce_tupleIifEEE10hipError_tPvRmT1_T2_T3_mT4_P12ihipStream_tbEUlT_E0_NS1_11comp_targetILNS1_3genE9ELNS1_11target_archE1100ELNS1_3gpuE3ELNS1_3repE0EEENS1_30default_config_static_selectorELNS0_4arch9wavefront6targetE0EEEvSY_,comdat
.Lfunc_end26:
	.size	_ZN7rocprim17ROCPRIM_400000_NS6detail17trampoline_kernelINS0_14default_configENS1_22reduce_config_selectorIN6thrust23THRUST_200600_302600_NS5tupleIbffNS6_9null_typeES8_S8_S8_S8_S8_S8_EEEEZNS1_11reduce_implILb1ES3_NS6_11hip_rocprim26transform_input_iterator_tIS9_NS6_12zip_iteratorINS7_INS6_17counting_iteratorIiNS6_11use_defaultESG_SG_EENS6_6detail15normal_iteratorINS6_10device_ptrIfEEEES8_S8_S8_S8_S8_S8_S8_S8_EEEE15transform_tupleIifEEEPS9_S9_12reduce_tupleIifEEE10hipError_tPvRmT1_T2_T3_mT4_P12ihipStream_tbEUlT_E0_NS1_11comp_targetILNS1_3genE9ELNS1_11target_archE1100ELNS1_3gpuE3ELNS1_3repE0EEENS1_30default_config_static_selectorELNS0_4arch9wavefront6targetE0EEEvSY_, .Lfunc_end26-_ZN7rocprim17ROCPRIM_400000_NS6detail17trampoline_kernelINS0_14default_configENS1_22reduce_config_selectorIN6thrust23THRUST_200600_302600_NS5tupleIbffNS6_9null_typeES8_S8_S8_S8_S8_S8_EEEEZNS1_11reduce_implILb1ES3_NS6_11hip_rocprim26transform_input_iterator_tIS9_NS6_12zip_iteratorINS7_INS6_17counting_iteratorIiNS6_11use_defaultESG_SG_EENS6_6detail15normal_iteratorINS6_10device_ptrIfEEEES8_S8_S8_S8_S8_S8_S8_S8_EEEE15transform_tupleIifEEEPS9_S9_12reduce_tupleIifEEE10hipError_tPvRmT1_T2_T3_mT4_P12ihipStream_tbEUlT_E0_NS1_11comp_targetILNS1_3genE9ELNS1_11target_archE1100ELNS1_3gpuE3ELNS1_3repE0EEENS1_30default_config_static_selectorELNS0_4arch9wavefront6targetE0EEEvSY_
                                        ; -- End function
	.set _ZN7rocprim17ROCPRIM_400000_NS6detail17trampoline_kernelINS0_14default_configENS1_22reduce_config_selectorIN6thrust23THRUST_200600_302600_NS5tupleIbffNS6_9null_typeES8_S8_S8_S8_S8_S8_EEEEZNS1_11reduce_implILb1ES3_NS6_11hip_rocprim26transform_input_iterator_tIS9_NS6_12zip_iteratorINS7_INS6_17counting_iteratorIiNS6_11use_defaultESG_SG_EENS6_6detail15normal_iteratorINS6_10device_ptrIfEEEES8_S8_S8_S8_S8_S8_S8_S8_EEEE15transform_tupleIifEEEPS9_S9_12reduce_tupleIifEEE10hipError_tPvRmT1_T2_T3_mT4_P12ihipStream_tbEUlT_E0_NS1_11comp_targetILNS1_3genE9ELNS1_11target_archE1100ELNS1_3gpuE3ELNS1_3repE0EEENS1_30default_config_static_selectorELNS0_4arch9wavefront6targetE0EEEvSY_.num_vgpr, 0
	.set _ZN7rocprim17ROCPRIM_400000_NS6detail17trampoline_kernelINS0_14default_configENS1_22reduce_config_selectorIN6thrust23THRUST_200600_302600_NS5tupleIbffNS6_9null_typeES8_S8_S8_S8_S8_S8_EEEEZNS1_11reduce_implILb1ES3_NS6_11hip_rocprim26transform_input_iterator_tIS9_NS6_12zip_iteratorINS7_INS6_17counting_iteratorIiNS6_11use_defaultESG_SG_EENS6_6detail15normal_iteratorINS6_10device_ptrIfEEEES8_S8_S8_S8_S8_S8_S8_S8_EEEE15transform_tupleIifEEEPS9_S9_12reduce_tupleIifEEE10hipError_tPvRmT1_T2_T3_mT4_P12ihipStream_tbEUlT_E0_NS1_11comp_targetILNS1_3genE9ELNS1_11target_archE1100ELNS1_3gpuE3ELNS1_3repE0EEENS1_30default_config_static_selectorELNS0_4arch9wavefront6targetE0EEEvSY_.num_agpr, 0
	.set _ZN7rocprim17ROCPRIM_400000_NS6detail17trampoline_kernelINS0_14default_configENS1_22reduce_config_selectorIN6thrust23THRUST_200600_302600_NS5tupleIbffNS6_9null_typeES8_S8_S8_S8_S8_S8_EEEEZNS1_11reduce_implILb1ES3_NS6_11hip_rocprim26transform_input_iterator_tIS9_NS6_12zip_iteratorINS7_INS6_17counting_iteratorIiNS6_11use_defaultESG_SG_EENS6_6detail15normal_iteratorINS6_10device_ptrIfEEEES8_S8_S8_S8_S8_S8_S8_S8_EEEE15transform_tupleIifEEEPS9_S9_12reduce_tupleIifEEE10hipError_tPvRmT1_T2_T3_mT4_P12ihipStream_tbEUlT_E0_NS1_11comp_targetILNS1_3genE9ELNS1_11target_archE1100ELNS1_3gpuE3ELNS1_3repE0EEENS1_30default_config_static_selectorELNS0_4arch9wavefront6targetE0EEEvSY_.numbered_sgpr, 0
	.set _ZN7rocprim17ROCPRIM_400000_NS6detail17trampoline_kernelINS0_14default_configENS1_22reduce_config_selectorIN6thrust23THRUST_200600_302600_NS5tupleIbffNS6_9null_typeES8_S8_S8_S8_S8_S8_EEEEZNS1_11reduce_implILb1ES3_NS6_11hip_rocprim26transform_input_iterator_tIS9_NS6_12zip_iteratorINS7_INS6_17counting_iteratorIiNS6_11use_defaultESG_SG_EENS6_6detail15normal_iteratorINS6_10device_ptrIfEEEES8_S8_S8_S8_S8_S8_S8_S8_EEEE15transform_tupleIifEEEPS9_S9_12reduce_tupleIifEEE10hipError_tPvRmT1_T2_T3_mT4_P12ihipStream_tbEUlT_E0_NS1_11comp_targetILNS1_3genE9ELNS1_11target_archE1100ELNS1_3gpuE3ELNS1_3repE0EEENS1_30default_config_static_selectorELNS0_4arch9wavefront6targetE0EEEvSY_.num_named_barrier, 0
	.set _ZN7rocprim17ROCPRIM_400000_NS6detail17trampoline_kernelINS0_14default_configENS1_22reduce_config_selectorIN6thrust23THRUST_200600_302600_NS5tupleIbffNS6_9null_typeES8_S8_S8_S8_S8_S8_EEEEZNS1_11reduce_implILb1ES3_NS6_11hip_rocprim26transform_input_iterator_tIS9_NS6_12zip_iteratorINS7_INS6_17counting_iteratorIiNS6_11use_defaultESG_SG_EENS6_6detail15normal_iteratorINS6_10device_ptrIfEEEES8_S8_S8_S8_S8_S8_S8_S8_EEEE15transform_tupleIifEEEPS9_S9_12reduce_tupleIifEEE10hipError_tPvRmT1_T2_T3_mT4_P12ihipStream_tbEUlT_E0_NS1_11comp_targetILNS1_3genE9ELNS1_11target_archE1100ELNS1_3gpuE3ELNS1_3repE0EEENS1_30default_config_static_selectorELNS0_4arch9wavefront6targetE0EEEvSY_.private_seg_size, 0
	.set _ZN7rocprim17ROCPRIM_400000_NS6detail17trampoline_kernelINS0_14default_configENS1_22reduce_config_selectorIN6thrust23THRUST_200600_302600_NS5tupleIbffNS6_9null_typeES8_S8_S8_S8_S8_S8_EEEEZNS1_11reduce_implILb1ES3_NS6_11hip_rocprim26transform_input_iterator_tIS9_NS6_12zip_iteratorINS7_INS6_17counting_iteratorIiNS6_11use_defaultESG_SG_EENS6_6detail15normal_iteratorINS6_10device_ptrIfEEEES8_S8_S8_S8_S8_S8_S8_S8_EEEE15transform_tupleIifEEEPS9_S9_12reduce_tupleIifEEE10hipError_tPvRmT1_T2_T3_mT4_P12ihipStream_tbEUlT_E0_NS1_11comp_targetILNS1_3genE9ELNS1_11target_archE1100ELNS1_3gpuE3ELNS1_3repE0EEENS1_30default_config_static_selectorELNS0_4arch9wavefront6targetE0EEEvSY_.uses_vcc, 0
	.set _ZN7rocprim17ROCPRIM_400000_NS6detail17trampoline_kernelINS0_14default_configENS1_22reduce_config_selectorIN6thrust23THRUST_200600_302600_NS5tupleIbffNS6_9null_typeES8_S8_S8_S8_S8_S8_EEEEZNS1_11reduce_implILb1ES3_NS6_11hip_rocprim26transform_input_iterator_tIS9_NS6_12zip_iteratorINS7_INS6_17counting_iteratorIiNS6_11use_defaultESG_SG_EENS6_6detail15normal_iteratorINS6_10device_ptrIfEEEES8_S8_S8_S8_S8_S8_S8_S8_EEEE15transform_tupleIifEEEPS9_S9_12reduce_tupleIifEEE10hipError_tPvRmT1_T2_T3_mT4_P12ihipStream_tbEUlT_E0_NS1_11comp_targetILNS1_3genE9ELNS1_11target_archE1100ELNS1_3gpuE3ELNS1_3repE0EEENS1_30default_config_static_selectorELNS0_4arch9wavefront6targetE0EEEvSY_.uses_flat_scratch, 0
	.set _ZN7rocprim17ROCPRIM_400000_NS6detail17trampoline_kernelINS0_14default_configENS1_22reduce_config_selectorIN6thrust23THRUST_200600_302600_NS5tupleIbffNS6_9null_typeES8_S8_S8_S8_S8_S8_EEEEZNS1_11reduce_implILb1ES3_NS6_11hip_rocprim26transform_input_iterator_tIS9_NS6_12zip_iteratorINS7_INS6_17counting_iteratorIiNS6_11use_defaultESG_SG_EENS6_6detail15normal_iteratorINS6_10device_ptrIfEEEES8_S8_S8_S8_S8_S8_S8_S8_EEEE15transform_tupleIifEEEPS9_S9_12reduce_tupleIifEEE10hipError_tPvRmT1_T2_T3_mT4_P12ihipStream_tbEUlT_E0_NS1_11comp_targetILNS1_3genE9ELNS1_11target_archE1100ELNS1_3gpuE3ELNS1_3repE0EEENS1_30default_config_static_selectorELNS0_4arch9wavefront6targetE0EEEvSY_.has_dyn_sized_stack, 0
	.set _ZN7rocprim17ROCPRIM_400000_NS6detail17trampoline_kernelINS0_14default_configENS1_22reduce_config_selectorIN6thrust23THRUST_200600_302600_NS5tupleIbffNS6_9null_typeES8_S8_S8_S8_S8_S8_EEEEZNS1_11reduce_implILb1ES3_NS6_11hip_rocprim26transform_input_iterator_tIS9_NS6_12zip_iteratorINS7_INS6_17counting_iteratorIiNS6_11use_defaultESG_SG_EENS6_6detail15normal_iteratorINS6_10device_ptrIfEEEES8_S8_S8_S8_S8_S8_S8_S8_EEEE15transform_tupleIifEEEPS9_S9_12reduce_tupleIifEEE10hipError_tPvRmT1_T2_T3_mT4_P12ihipStream_tbEUlT_E0_NS1_11comp_targetILNS1_3genE9ELNS1_11target_archE1100ELNS1_3gpuE3ELNS1_3repE0EEENS1_30default_config_static_selectorELNS0_4arch9wavefront6targetE0EEEvSY_.has_recursion, 0
	.set _ZN7rocprim17ROCPRIM_400000_NS6detail17trampoline_kernelINS0_14default_configENS1_22reduce_config_selectorIN6thrust23THRUST_200600_302600_NS5tupleIbffNS6_9null_typeES8_S8_S8_S8_S8_S8_EEEEZNS1_11reduce_implILb1ES3_NS6_11hip_rocprim26transform_input_iterator_tIS9_NS6_12zip_iteratorINS7_INS6_17counting_iteratorIiNS6_11use_defaultESG_SG_EENS6_6detail15normal_iteratorINS6_10device_ptrIfEEEES8_S8_S8_S8_S8_S8_S8_S8_EEEE15transform_tupleIifEEEPS9_S9_12reduce_tupleIifEEE10hipError_tPvRmT1_T2_T3_mT4_P12ihipStream_tbEUlT_E0_NS1_11comp_targetILNS1_3genE9ELNS1_11target_archE1100ELNS1_3gpuE3ELNS1_3repE0EEENS1_30default_config_static_selectorELNS0_4arch9wavefront6targetE0EEEvSY_.has_indirect_call, 0
	.section	.AMDGPU.csdata,"",@progbits
; Kernel info:
; codeLenInByte = 0
; TotalNumSgprs: 0
; NumVgprs: 0
; ScratchSize: 0
; MemoryBound: 0
; FloatMode: 240
; IeeeMode: 1
; LDSByteSize: 0 bytes/workgroup (compile time only)
; SGPRBlocks: 0
; VGPRBlocks: 0
; NumSGPRsForWavesPerEU: 1
; NumVGPRsForWavesPerEU: 1
; Occupancy: 16
; WaveLimiterHint : 0
; COMPUTE_PGM_RSRC2:SCRATCH_EN: 0
; COMPUTE_PGM_RSRC2:USER_SGPR: 6
; COMPUTE_PGM_RSRC2:TRAP_HANDLER: 0
; COMPUTE_PGM_RSRC2:TGID_X_EN: 1
; COMPUTE_PGM_RSRC2:TGID_Y_EN: 0
; COMPUTE_PGM_RSRC2:TGID_Z_EN: 0
; COMPUTE_PGM_RSRC2:TIDIG_COMP_CNT: 0
	.section	.text._ZN7rocprim17ROCPRIM_400000_NS6detail17trampoline_kernelINS0_14default_configENS1_22reduce_config_selectorIN6thrust23THRUST_200600_302600_NS5tupleIbffNS6_9null_typeES8_S8_S8_S8_S8_S8_EEEEZNS1_11reduce_implILb1ES3_NS6_11hip_rocprim26transform_input_iterator_tIS9_NS6_12zip_iteratorINS7_INS6_17counting_iteratorIiNS6_11use_defaultESG_SG_EENS6_6detail15normal_iteratorINS6_10device_ptrIfEEEES8_S8_S8_S8_S8_S8_S8_S8_EEEE15transform_tupleIifEEEPS9_S9_12reduce_tupleIifEEE10hipError_tPvRmT1_T2_T3_mT4_P12ihipStream_tbEUlT_E0_NS1_11comp_targetILNS1_3genE8ELNS1_11target_archE1030ELNS1_3gpuE2ELNS1_3repE0EEENS1_30default_config_static_selectorELNS0_4arch9wavefront6targetE0EEEvSY_,"axG",@progbits,_ZN7rocprim17ROCPRIM_400000_NS6detail17trampoline_kernelINS0_14default_configENS1_22reduce_config_selectorIN6thrust23THRUST_200600_302600_NS5tupleIbffNS6_9null_typeES8_S8_S8_S8_S8_S8_EEEEZNS1_11reduce_implILb1ES3_NS6_11hip_rocprim26transform_input_iterator_tIS9_NS6_12zip_iteratorINS7_INS6_17counting_iteratorIiNS6_11use_defaultESG_SG_EENS6_6detail15normal_iteratorINS6_10device_ptrIfEEEES8_S8_S8_S8_S8_S8_S8_S8_EEEE15transform_tupleIifEEEPS9_S9_12reduce_tupleIifEEE10hipError_tPvRmT1_T2_T3_mT4_P12ihipStream_tbEUlT_E0_NS1_11comp_targetILNS1_3genE8ELNS1_11target_archE1030ELNS1_3gpuE2ELNS1_3repE0EEENS1_30default_config_static_selectorELNS0_4arch9wavefront6targetE0EEEvSY_,comdat
	.protected	_ZN7rocprim17ROCPRIM_400000_NS6detail17trampoline_kernelINS0_14default_configENS1_22reduce_config_selectorIN6thrust23THRUST_200600_302600_NS5tupleIbffNS6_9null_typeES8_S8_S8_S8_S8_S8_EEEEZNS1_11reduce_implILb1ES3_NS6_11hip_rocprim26transform_input_iterator_tIS9_NS6_12zip_iteratorINS7_INS6_17counting_iteratorIiNS6_11use_defaultESG_SG_EENS6_6detail15normal_iteratorINS6_10device_ptrIfEEEES8_S8_S8_S8_S8_S8_S8_S8_EEEE15transform_tupleIifEEEPS9_S9_12reduce_tupleIifEEE10hipError_tPvRmT1_T2_T3_mT4_P12ihipStream_tbEUlT_E0_NS1_11comp_targetILNS1_3genE8ELNS1_11target_archE1030ELNS1_3gpuE2ELNS1_3repE0EEENS1_30default_config_static_selectorELNS0_4arch9wavefront6targetE0EEEvSY_ ; -- Begin function _ZN7rocprim17ROCPRIM_400000_NS6detail17trampoline_kernelINS0_14default_configENS1_22reduce_config_selectorIN6thrust23THRUST_200600_302600_NS5tupleIbffNS6_9null_typeES8_S8_S8_S8_S8_S8_EEEEZNS1_11reduce_implILb1ES3_NS6_11hip_rocprim26transform_input_iterator_tIS9_NS6_12zip_iteratorINS7_INS6_17counting_iteratorIiNS6_11use_defaultESG_SG_EENS6_6detail15normal_iteratorINS6_10device_ptrIfEEEES8_S8_S8_S8_S8_S8_S8_S8_EEEE15transform_tupleIifEEEPS9_S9_12reduce_tupleIifEEE10hipError_tPvRmT1_T2_T3_mT4_P12ihipStream_tbEUlT_E0_NS1_11comp_targetILNS1_3genE8ELNS1_11target_archE1030ELNS1_3gpuE2ELNS1_3repE0EEENS1_30default_config_static_selectorELNS0_4arch9wavefront6targetE0EEEvSY_
	.globl	_ZN7rocprim17ROCPRIM_400000_NS6detail17trampoline_kernelINS0_14default_configENS1_22reduce_config_selectorIN6thrust23THRUST_200600_302600_NS5tupleIbffNS6_9null_typeES8_S8_S8_S8_S8_S8_EEEEZNS1_11reduce_implILb1ES3_NS6_11hip_rocprim26transform_input_iterator_tIS9_NS6_12zip_iteratorINS7_INS6_17counting_iteratorIiNS6_11use_defaultESG_SG_EENS6_6detail15normal_iteratorINS6_10device_ptrIfEEEES8_S8_S8_S8_S8_S8_S8_S8_EEEE15transform_tupleIifEEEPS9_S9_12reduce_tupleIifEEE10hipError_tPvRmT1_T2_T3_mT4_P12ihipStream_tbEUlT_E0_NS1_11comp_targetILNS1_3genE8ELNS1_11target_archE1030ELNS1_3gpuE2ELNS1_3repE0EEENS1_30default_config_static_selectorELNS0_4arch9wavefront6targetE0EEEvSY_
	.p2align	8
	.type	_ZN7rocprim17ROCPRIM_400000_NS6detail17trampoline_kernelINS0_14default_configENS1_22reduce_config_selectorIN6thrust23THRUST_200600_302600_NS5tupleIbffNS6_9null_typeES8_S8_S8_S8_S8_S8_EEEEZNS1_11reduce_implILb1ES3_NS6_11hip_rocprim26transform_input_iterator_tIS9_NS6_12zip_iteratorINS7_INS6_17counting_iteratorIiNS6_11use_defaultESG_SG_EENS6_6detail15normal_iteratorINS6_10device_ptrIfEEEES8_S8_S8_S8_S8_S8_S8_S8_EEEE15transform_tupleIifEEEPS9_S9_12reduce_tupleIifEEE10hipError_tPvRmT1_T2_T3_mT4_P12ihipStream_tbEUlT_E0_NS1_11comp_targetILNS1_3genE8ELNS1_11target_archE1030ELNS1_3gpuE2ELNS1_3repE0EEENS1_30default_config_static_selectorELNS0_4arch9wavefront6targetE0EEEvSY_,@function
_ZN7rocprim17ROCPRIM_400000_NS6detail17trampoline_kernelINS0_14default_configENS1_22reduce_config_selectorIN6thrust23THRUST_200600_302600_NS5tupleIbffNS6_9null_typeES8_S8_S8_S8_S8_S8_EEEEZNS1_11reduce_implILb1ES3_NS6_11hip_rocprim26transform_input_iterator_tIS9_NS6_12zip_iteratorINS7_INS6_17counting_iteratorIiNS6_11use_defaultESG_SG_EENS6_6detail15normal_iteratorINS6_10device_ptrIfEEEES8_S8_S8_S8_S8_S8_S8_S8_EEEE15transform_tupleIifEEEPS9_S9_12reduce_tupleIifEEE10hipError_tPvRmT1_T2_T3_mT4_P12ihipStream_tbEUlT_E0_NS1_11comp_targetILNS1_3genE8ELNS1_11target_archE1030ELNS1_3gpuE2ELNS1_3repE0EEENS1_30default_config_static_selectorELNS0_4arch9wavefront6targetE0EEEvSY_: ; @_ZN7rocprim17ROCPRIM_400000_NS6detail17trampoline_kernelINS0_14default_configENS1_22reduce_config_selectorIN6thrust23THRUST_200600_302600_NS5tupleIbffNS6_9null_typeES8_S8_S8_S8_S8_S8_EEEEZNS1_11reduce_implILb1ES3_NS6_11hip_rocprim26transform_input_iterator_tIS9_NS6_12zip_iteratorINS7_INS6_17counting_iteratorIiNS6_11use_defaultESG_SG_EENS6_6detail15normal_iteratorINS6_10device_ptrIfEEEES8_S8_S8_S8_S8_S8_S8_S8_EEEE15transform_tupleIifEEEPS9_S9_12reduce_tupleIifEEE10hipError_tPvRmT1_T2_T3_mT4_P12ihipStream_tbEUlT_E0_NS1_11comp_targetILNS1_3genE8ELNS1_11target_archE1030ELNS1_3gpuE2ELNS1_3repE0EEENS1_30default_config_static_selectorELNS0_4arch9wavefront6targetE0EEEvSY_
; %bb.0:
	s_clause 0x3
	s_load_dwordx8 s[8:15], s[4:5], 0x18
	s_load_dwordx4 s[0:3], s[4:5], 0x8
	s_load_dword s22, s[4:5], 0x0
	s_load_dwordx2 s[16:17], s[4:5], 0x38
	s_mov_b32 s21, 0
	v_lshlrev_b32_e32 v3, 2, v0
	s_mov_b32 s7, s21
	s_waitcnt lgkmcnt(0)
	s_lshl_b64 s[18:19], s[8:9], 2
	s_add_u32 s9, s0, s18
	s_addc_u32 s23, s1, s19
	s_lshl_b32 s20, s6, 9
	s_lshr_b64 s[0:1], s[10:11], 9
	s_add_i32 s22, s22, s20
	s_lshl_b64 s[18:19], s[20:21], 2
	s_add_i32 s21, s22, s8
	s_add_u32 s18, s9, s18
	s_addc_u32 s19, s23, s19
	s_cmp_lg_u64 s[0:1], s[6:7]
	s_cbranch_scc0 .LBB27_60
; %bb.1:
	s_clause 0x1
	global_load_dword v1, v3, s[18:19]
	global_load_dword v2, v3, s[18:19] offset:1024
	s_abs_i32 s0, s3
	v_add_nc_u32_e32 v6, s21, v0
	v_cvt_f32_u32_e32 v4, s0
	s_sub_i32 s1, 0, s0
	v_sub_nc_u32_e32 v7, 0, v6
	v_rcp_iflag_f32_e32 v4, v4
	v_add_nc_u32_e32 v8, 0x100, v6
	v_sub_nc_u32_e32 v9, 0xffffff00, v6
	v_max_i32_e32 v7, v6, v7
	v_ashrrev_i32_e32 v6, 31, v6
	v_mul_f32_e32 v4, 0x4f7ffffe, v4
	v_cvt_u32_f32_e32 v4, v4
	v_mul_lo_u32 v5, s1, v4
	v_mul_hi_u32 v5, v4, v5
	v_add_nc_u32_e32 v4, v4, v5
	v_max_i32_e32 v5, v8, v9
	v_mul_hi_u32 v9, v7, v4
	v_mul_hi_u32 v4, v5, v4
	v_mul_lo_u32 v9, v9, s0
	v_mul_lo_u32 v4, v4, s0
	v_sub_nc_u32_e32 v7, v7, v9
	v_sub_nc_u32_e32 v4, v5, v4
	v_subrev_nc_u32_e32 v5, s0, v7
	v_cmp_le_u32_e32 vcc_lo, s0, v7
	v_subrev_nc_u32_e32 v9, s0, v4
	v_cndmask_b32_e32 v5, v7, v5, vcc_lo
	v_cmp_le_u32_e32 vcc_lo, s0, v4
	v_subrev_nc_u32_e32 v7, s0, v5
	v_cndmask_b32_e32 v4, v4, v9, vcc_lo
	;; [unrolled: 3-line block ×3, first 2 shown]
	v_cmp_le_u32_e32 vcc_lo, s0, v4
	v_ashrrev_i32_e32 v7, 31, v8
	v_xor_b32_e32 v5, v5, v6
	v_cndmask_b32_e32 v4, v4, v9, vcc_lo
	v_sub_nc_u32_e32 v5, v5, v6
	v_xor_b32_e32 v4, v4, v7
	v_cmp_le_i32_e64 s0, s2, v5
	v_sub_nc_u32_e32 v4, v4, v7
	v_cmp_le_i32_e64 s1, s2, v4
	v_cmp_gt_i32_e32 vcc_lo, s2, v4
                                        ; implicit-def: $vgpr4
	s_or_b32 s1, s0, s1
	s_and_saveexec_b32 s7, s1
	s_xor_b32 s1, exec_lo, s7
	s_cbranch_execz .LBB27_5
; %bb.2:
	v_mov_b32_e32 v4, 1
	s_and_saveexec_b32 s7, s0
	s_cbranch_execz .LBB27_4
; %bb.3:
	v_cndmask_b32_e64 v4, 0, 1, vcc_lo
	s_waitcnt vmcnt(0)
	v_mov_b32_e32 v1, v2
.LBB27_4:
	s_or_b32 exec_lo, exec_lo, s7
                                        ; implicit-def: $vgpr2
.LBB27_5:
	s_or_saveexec_b32 s0, s1
	s_waitcnt vmcnt(1)
	v_mov_b32_e32 v5, v1
	s_xor_b32 exec_lo, exec_lo, s0
	s_cbranch_execz .LBB27_7
; %bb.6:
	s_waitcnt vmcnt(0)
	v_cmp_lt_f32_e32 vcc_lo, v2, v1
	v_mov_b32_e32 v4, 1
	v_cndmask_b32_e32 v6, v1, v2, vcc_lo
	v_cmp_lt_f32_e32 vcc_lo, v1, v2
	v_cndmask_b32_e32 v5, v1, v2, vcc_lo
	v_mov_b32_e32 v1, v6
.LBB27_7:
	s_or_b32 exec_lo, exec_lo, s0
	v_and_b32_e32 v7, 0xff, v4
	v_and_b32_e32 v4, 1, v4
                                        ; implicit-def: $vgpr6
	s_waitcnt vmcnt(0)
	v_mov_b32_dpp v2, v7 quad_perm:[1,0,3,2] row_mask:0xf bank_mask:0xf
	v_cmp_eq_u32_e64 s0, 1, v4
	v_mov_b32_dpp v4, v5 quad_perm:[1,0,3,2] row_mask:0xf bank_mask:0xf
	v_and_b32_e32 v2, 1, v2
	v_cmp_eq_u32_e32 vcc_lo, 1, v2
	v_mov_b32_dpp v2, v1 quad_perm:[1,0,3,2] row_mask:0xf bank_mask:0xf
	s_and_b32 s0, vcc_lo, s0
	s_xor_b32 s0, s0, -1
	s_and_saveexec_b32 s1, s0
	s_xor_b32 s0, exec_lo, s1
	s_cbranch_execz .LBB27_11
; %bb.8:
	v_mov_b32_e32 v6, 1
	s_xor_b32 s7, vcc_lo, -1
	s_and_saveexec_b32 s1, s7
; %bb.9:
	v_mov_b32_e32 v4, v5
	v_mov_b32_e32 v2, v1
	;; [unrolled: 1-line block ×3, first 2 shown]
; %bb.10:
	s_or_b32 exec_lo, exec_lo, s1
                                        ; implicit-def: $vgpr1
                                        ; implicit-def: $vgpr5
.LBB27_11:
	s_andn2_saveexec_b32 s0, s0
; %bb.12:
	v_cmp_lt_f32_e32 vcc_lo, v1, v2
	v_mov_b32_e32 v6, 1
	v_cndmask_b32_e32 v2, v2, v1, vcc_lo
	v_cmp_gt_f32_e32 vcc_lo, v5, v4
	v_cndmask_b32_e32 v4, v4, v5, vcc_lo
; %bb.13:
	s_or_b32 exec_lo, exec_lo, s0
	v_mov_b32_dpp v1, v6 quad_perm:[2,3,0,1] row_mask:0xf bank_mask:0xf
	v_and_b32_e32 v5, v1, v6
	v_and_b32_e32 v7, 1, v1
	v_mov_b32_dpp v1, v2 quad_perm:[2,3,0,1] row_mask:0xf bank_mask:0xf
	v_and_b32_e32 v8, 1, v5
	v_mov_b32_dpp v5, v4 quad_perm:[2,3,0,1] row_mask:0xf bank_mask:0xf
	v_cmp_ne_u32_e32 vcc_lo, 1, v7
                                        ; implicit-def: $vgpr7
	v_cmp_ne_u32_e64 s0, 1, v8
	s_and_saveexec_b32 s1, s0
	s_xor_b32 s0, exec_lo, s1
	s_cbranch_execz .LBB27_17
; %bb.14:
	v_mov_b32_e32 v7, 1
	s_and_saveexec_b32 s1, vcc_lo
; %bb.15:
	v_mov_b32_e32 v5, v4
	v_mov_b32_e32 v1, v2
	;; [unrolled: 1-line block ×3, first 2 shown]
; %bb.16:
	s_or_b32 exec_lo, exec_lo, s1
                                        ; implicit-def: $vgpr2
                                        ; implicit-def: $vgpr4
.LBB27_17:
	s_andn2_saveexec_b32 s0, s0
; %bb.18:
	v_cmp_lt_f32_e32 vcc_lo, v2, v1
	v_mov_b32_e32 v7, 1
	v_cndmask_b32_e32 v1, v1, v2, vcc_lo
	v_cmp_gt_f32_e32 vcc_lo, v4, v5
	v_cndmask_b32_e32 v5, v5, v4, vcc_lo
; %bb.19:
	s_or_b32 exec_lo, exec_lo, s0
	v_mov_b32_dpp v2, v7 row_ror:4 row_mask:0xf bank_mask:0xf
	v_and_b32_e32 v4, v2, v7
	v_and_b32_e32 v6, 1, v2
	v_mov_b32_dpp v2, v1 row_ror:4 row_mask:0xf bank_mask:0xf
	v_and_b32_e32 v8, 1, v4
	v_mov_b32_dpp v4, v5 row_ror:4 row_mask:0xf bank_mask:0xf
	v_cmp_ne_u32_e32 vcc_lo, 1, v6
                                        ; implicit-def: $vgpr6
	v_cmp_ne_u32_e64 s0, 1, v8
	s_and_saveexec_b32 s1, s0
	s_xor_b32 s0, exec_lo, s1
	s_cbranch_execz .LBB27_23
; %bb.20:
	v_mov_b32_e32 v6, 1
	s_and_saveexec_b32 s1, vcc_lo
; %bb.21:
	v_mov_b32_e32 v4, v5
	v_mov_b32_e32 v2, v1
	;; [unrolled: 1-line block ×3, first 2 shown]
; %bb.22:
	s_or_b32 exec_lo, exec_lo, s1
                                        ; implicit-def: $vgpr1
                                        ; implicit-def: $vgpr5
.LBB27_23:
	s_andn2_saveexec_b32 s0, s0
; %bb.24:
	v_cmp_lt_f32_e32 vcc_lo, v1, v2
	v_mov_b32_e32 v6, 1
	v_cndmask_b32_e32 v2, v2, v1, vcc_lo
	v_cmp_gt_f32_e32 vcc_lo, v5, v4
	v_cndmask_b32_e32 v4, v4, v5, vcc_lo
; %bb.25:
	s_or_b32 exec_lo, exec_lo, s0
	v_mov_b32_dpp v1, v6 row_ror:8 row_mask:0xf bank_mask:0xf
	v_and_b32_e32 v5, v1, v6
	v_and_b32_e32 v7, 1, v1
	v_mov_b32_dpp v1, v2 row_ror:8 row_mask:0xf bank_mask:0xf
	v_and_b32_e32 v8, 1, v5
	v_mov_b32_dpp v5, v4 row_ror:8 row_mask:0xf bank_mask:0xf
	v_cmp_ne_u32_e32 vcc_lo, 1, v7
                                        ; implicit-def: $vgpr7
	v_cmp_ne_u32_e64 s0, 1, v8
	s_and_saveexec_b32 s1, s0
	s_xor_b32 s0, exec_lo, s1
	s_cbranch_execz .LBB27_29
; %bb.26:
	v_mov_b32_e32 v7, 1
	s_and_saveexec_b32 s1, vcc_lo
; %bb.27:
	v_mov_b32_e32 v5, v4
	v_mov_b32_e32 v1, v2
	;; [unrolled: 1-line block ×3, first 2 shown]
; %bb.28:
	s_or_b32 exec_lo, exec_lo, s1
                                        ; implicit-def: $vgpr2
                                        ; implicit-def: $vgpr4
.LBB27_29:
	s_andn2_saveexec_b32 s0, s0
; %bb.30:
	v_cmp_lt_f32_e32 vcc_lo, v2, v1
	v_mov_b32_e32 v7, 1
	v_cndmask_b32_e32 v1, v1, v2, vcc_lo
	v_cmp_gt_f32_e32 vcc_lo, v4, v5
	v_cndmask_b32_e32 v5, v5, v4, vcc_lo
; %bb.31:
	s_or_b32 exec_lo, exec_lo, s0
	ds_swizzle_b32 v4, v7 offset:swizzle(BROADCAST,32,15)
	ds_swizzle_b32 v6, v1 offset:swizzle(BROADCAST,32,15)
	ds_swizzle_b32 v2, v5 offset:swizzle(BROADCAST,32,15)
	s_waitcnt lgkmcnt(2)
	v_and_b32_e32 v8, v4, v7
	v_and_b32_e32 v4, 1, v4
	;; [unrolled: 1-line block ×3, first 2 shown]
	v_cmp_ne_u32_e32 vcc_lo, 1, v4
                                        ; implicit-def: $vgpr4
	v_cmp_ne_u32_e64 s0, 1, v8
	s_and_saveexec_b32 s1, s0
	s_xor_b32 s0, exec_lo, s1
	s_cbranch_execz .LBB27_35
; %bb.32:
	v_mov_b32_e32 v4, 1
	s_and_saveexec_b32 s1, vcc_lo
	s_cbranch_execz .LBB27_34
; %bb.33:
	s_waitcnt lgkmcnt(0)
	v_mov_b32_e32 v2, v5
	v_mov_b32_e32 v6, v1
	;; [unrolled: 1-line block ×3, first 2 shown]
.LBB27_34:
	s_or_b32 exec_lo, exec_lo, s1
                                        ; implicit-def: $vgpr1
                                        ; implicit-def: $vgpr5
.LBB27_35:
	s_andn2_saveexec_b32 s0, s0
	s_cbranch_execz .LBB27_37
; %bb.36:
	s_waitcnt lgkmcnt(1)
	v_cmp_lt_f32_e32 vcc_lo, v1, v6
	v_mov_b32_e32 v4, 1
	v_cndmask_b32_e32 v6, v6, v1, vcc_lo
	s_waitcnt lgkmcnt(0)
	v_cmp_gt_f32_e32 vcc_lo, v5, v2
	v_cndmask_b32_e32 v2, v2, v5, vcc_lo
.LBB27_37:
	s_or_b32 exec_lo, exec_lo, s0
	v_mov_b32_e32 v5, 0
	s_mov_b32 s0, exec_lo
	ds_bpermute_b32 v4, v5, v4 offset:124
	s_waitcnt lgkmcnt(2)
	ds_bpermute_b32 v1, v5, v6 offset:124
	s_waitcnt lgkmcnt(2)
	ds_bpermute_b32 v2, v5, v2 offset:124
	v_mbcnt_lo_u32_b32 v5, -1, 0
	v_cmpx_eq_u32_e32 0, v5
	s_cbranch_execz .LBB27_39
; %bb.38:
	v_lshrrev_b32_e32 v6, 5, v0
	v_mul_u32_u24_e32 v6, 12, v6
	s_waitcnt lgkmcnt(2)
	ds_write_b8 v6, v4 offset:96
	s_waitcnt lgkmcnt(1)
	ds_write2_b32 v6, v1, v2 offset0:25 offset1:26
.LBB27_39:
	s_or_b32 exec_lo, exec_lo, s0
	s_mov_b32 s0, exec_lo
	s_waitcnt lgkmcnt(0)
	s_barrier
	buffer_gl0_inv
	v_cmpx_gt_u32_e32 32, v0
	s_cbranch_execz .LBB27_59
; %bb.40:
	v_and_b32_e32 v6, 7, v5
	s_mov_b32 s1, exec_lo
	v_mul_u32_u24_e32 v1, 12, v6
	v_cmp_ne_u32_e32 vcc_lo, 7, v6
	ds_read_u8 v10, v1 offset:96
	v_add_co_ci_u32_e64 v4, null, 0, v5, vcc_lo
	ds_read2_b32 v[1:2], v1 offset0:25 offset1:26
	v_lshlrev_b32_e32 v4, 2, v4
	s_waitcnt lgkmcnt(1)
	v_and_b32_e32 v7, 0xff, v10
	ds_bpermute_b32 v8, v4, v7
	s_waitcnt lgkmcnt(1)
	ds_bpermute_b32 v7, v4, v1
	ds_bpermute_b32 v4, v4, v2
	s_waitcnt lgkmcnt(2)
	v_and_b32_e32 v9, v10, v8
	v_and_b32_e32 v9, 1, v9
	v_cmpx_eq_u32_e32 1, v9
	s_xor_b32 s1, exec_lo, s1
	s_cbranch_execz .LBB27_42
; %bb.41:
	s_waitcnt lgkmcnt(1)
	v_cmp_gt_f32_e32 vcc_lo, v1, v7
                                        ; implicit-def: $vgpr8
                                        ; implicit-def: $vgpr10
	v_cndmask_b32_e32 v7, v1, v7, vcc_lo
	s_waitcnt lgkmcnt(0)
	v_cmp_lt_f32_e32 vcc_lo, v2, v4
	v_cndmask_b32_e32 v4, v2, v4, vcc_lo
                                        ; implicit-def: $vgpr2
.LBB27_42:
	s_or_saveexec_b32 s1, s1
	v_mov_b32_e32 v9, 1
	s_xor_b32 exec_lo, exec_lo, s1
	s_cbranch_execz .LBB27_46
; %bb.43:
	v_and_b32_e32 v9, 1, v10
	s_mov_b32 s7, exec_lo
	v_cmpx_eq_u32_e32 1, v9
	s_cbranch_execz .LBB27_45
; %bb.44:
	v_mov_b32_e32 v8, 1
	s_waitcnt lgkmcnt(0)
	v_mov_b32_e32 v4, v2
	v_mov_b32_e32 v7, v1
.LBB27_45:
	s_or_b32 exec_lo, exec_lo, s7
	v_mov_b32_e32 v9, v8
.LBB27_46:
	s_or_b32 exec_lo, exec_lo, s1
	v_cmp_gt_u32_e32 vcc_lo, 6, v6
	v_and_b32_e32 v2, 0xff, v9
	s_mov_b32 s1, exec_lo
	v_cndmask_b32_e64 v1, 0, 2, vcc_lo
	v_add_lshl_u32 v6, v1, v5, 2
	ds_bpermute_b32 v1, v6, v2
	s_waitcnt lgkmcnt(2)
	ds_bpermute_b32 v8, v6, v7
	s_waitcnt lgkmcnt(2)
	;; [unrolled: 2-line block ×3, first 2 shown]
	v_and_b32_e32 v2, v9, v1
	v_and_b32_e32 v2, 1, v2
	v_cmpx_eq_u32_e32 1, v2
	s_xor_b32 s1, exec_lo, s1
	s_cbranch_execz .LBB27_48
; %bb.47:
	s_waitcnt lgkmcnt(1)
	v_cmp_gt_f32_e32 vcc_lo, v7, v8
                                        ; implicit-def: $vgpr1
                                        ; implicit-def: $vgpr9
	v_cndmask_b32_e32 v8, v7, v8, vcc_lo
	s_waitcnt lgkmcnt(0)
	v_cmp_lt_f32_e32 vcc_lo, v4, v6
                                        ; implicit-def: $vgpr7
	v_cndmask_b32_e32 v6, v4, v6, vcc_lo
                                        ; implicit-def: $vgpr4
.LBB27_48:
	s_or_saveexec_b32 s1, s1
	v_lshlrev_b32_e32 v2, 2, v5
	v_mov_b32_e32 v10, 1
	s_xor_b32 exec_lo, exec_lo, s1
	s_cbranch_execz .LBB27_52
; %bb.49:
	v_and_b32_e32 v5, 1, v9
	s_mov_b32 s7, exec_lo
	v_cmpx_eq_u32_e32 1, v5
	s_cbranch_execz .LBB27_51
; %bb.50:
	v_mov_b32_e32 v1, 1
	s_waitcnt lgkmcnt(0)
	v_mov_b32_e32 v6, v4
	v_mov_b32_e32 v8, v7
.LBB27_51:
	s_or_b32 exec_lo, exec_lo, s7
	v_mov_b32_e32 v10, v1
.LBB27_52:
	s_or_b32 exec_lo, exec_lo, s1
	v_and_b32_e32 v1, 0xff, v10
	v_or_b32_e32 v2, 16, v2
	s_mov_b32 s1, exec_lo
	ds_bpermute_b32 v5, v2, v1
	s_waitcnt lgkmcnt(2)
	ds_bpermute_b32 v1, v2, v8
	s_waitcnt lgkmcnt(2)
	;; [unrolled: 2-line block ×3, first 2 shown]
	v_and_b32_e32 v4, v10, v5
	v_and_b32_e32 v4, 1, v4
	v_cmpx_eq_u32_e32 1, v4
	s_xor_b32 s1, exec_lo, s1
	s_cbranch_execz .LBB27_54
; %bb.53:
	s_waitcnt lgkmcnt(1)
	v_cmp_gt_f32_e32 vcc_lo, v8, v1
                                        ; implicit-def: $vgpr5
                                        ; implicit-def: $vgpr10
	v_cndmask_b32_e32 v1, v8, v1, vcc_lo
	s_waitcnt lgkmcnt(0)
	v_cmp_lt_f32_e32 vcc_lo, v6, v2
                                        ; implicit-def: $vgpr8
	v_cndmask_b32_e32 v2, v6, v2, vcc_lo
                                        ; implicit-def: $vgpr6
.LBB27_54:
	s_or_saveexec_b32 s1, s1
	v_mov_b32_e32 v4, 1
	s_xor_b32 exec_lo, exec_lo, s1
	s_cbranch_execz .LBB27_58
; %bb.55:
	v_and_b32_e32 v4, 1, v10
	s_mov_b32 s7, exec_lo
	v_cmpx_eq_u32_e32 1, v4
	s_cbranch_execz .LBB27_57
; %bb.56:
	v_mov_b32_e32 v5, 1
	s_waitcnt lgkmcnt(0)
	v_mov_b32_e32 v2, v6
	v_mov_b32_e32 v1, v8
.LBB27_57:
	s_or_b32 exec_lo, exec_lo, s7
	v_mov_b32_e32 v4, v5
.LBB27_58:
	s_or_b32 exec_lo, exec_lo, s1
.LBB27_59:
	s_or_b32 exec_lo, exec_lo, s0
	s_load_dwordx2 s[8:9], s[4:5], 0x44
	s_branch .LBB27_142
.LBB27_60:
                                        ; implicit-def: $vgpr2
                                        ; implicit-def: $vgpr4
	s_load_dwordx2 s[8:9], s[4:5], 0x44
	s_cbranch_execz .LBB27_142
; %bb.61:
	v_mov_b32_e32 v6, 0
	v_mov_b32_e32 v4, 0
	s_waitcnt lgkmcnt(0)
	v_mov_b32_e32 v1, 0
	s_sub_i32 s1, s10, s20
	s_mov_b32 s0, exec_lo
	v_cmpx_gt_u32_e64 s1, v0
	s_cbranch_execz .LBB27_63
; %bb.62:
	global_load_dword v1, v3, s[18:19]
	s_abs_i32 s7, s3
	v_add_nc_u32_e32 v6, s21, v0
	v_cvt_f32_u32_e32 v2, s7
	s_sub_i32 s20, 0, s7
	v_sub_nc_u32_e32 v7, 0, v6
	v_rcp_iflag_f32_e32 v2, v2
	v_max_i32_e32 v7, v6, v7
	v_ashrrev_i32_e32 v6, 31, v6
	v_mul_f32_e32 v2, 0x4f7ffffe, v2
	v_cvt_u32_f32_e32 v2, v2
	v_mul_lo_u32 v5, s20, v2
	v_mul_hi_u32 v5, v2, v5
	v_add_nc_u32_e32 v2, v2, v5
	v_mul_hi_u32 v2, v7, v2
	v_mul_lo_u32 v2, v2, s7
	v_sub_nc_u32_e32 v2, v7, v2
	v_subrev_nc_u32_e32 v5, s7, v2
	v_cmp_le_u32_e32 vcc_lo, s7, v2
	v_cndmask_b32_e32 v2, v2, v5, vcc_lo
	v_subrev_nc_u32_e32 v5, s7, v2
	v_cmp_le_u32_e32 vcc_lo, s7, v2
	v_cndmask_b32_e32 v2, v2, v5, vcc_lo
	v_xor_b32_e32 v2, v2, v6
	v_sub_nc_u32_e32 v2, v2, v6
	v_cmp_gt_i32_e32 vcc_lo, s2, v2
	v_cndmask_b32_e64 v6, 0, 1, vcc_lo
.LBB27_63:
	s_or_b32 exec_lo, exec_lo, s0
	v_or_b32_e32 v2, 0x100, v0
	v_mov_b32_e32 v5, 0
	v_cmp_gt_u32_e32 vcc_lo, s1, v2
	s_and_saveexec_b32 s7, vcc_lo
	s_cbranch_execz .LBB27_65
; %bb.64:
	global_load_dword v4, v3, s[18:19] offset:1024
	s_abs_i32 s3, s3
	v_add_nc_u32_e32 v2, s21, v2
	v_cvt_f32_u32_e32 v3, s3
	s_sub_i32 s0, 0, s3
	v_sub_nc_u32_e32 v7, 0, v2
	v_rcp_iflag_f32_e32 v3, v3
	v_max_i32_e32 v7, v2, v7
	v_ashrrev_i32_e32 v2, 31, v2
	v_mul_f32_e32 v3, 0x4f7ffffe, v3
	v_cvt_u32_f32_e32 v3, v3
	v_mul_lo_u32 v5, s0, v3
	v_mul_hi_u32 v5, v3, v5
	v_add_nc_u32_e32 v3, v3, v5
	v_mul_hi_u32 v3, v7, v3
	v_mul_lo_u32 v3, v3, s3
	v_sub_nc_u32_e32 v3, v7, v3
	v_subrev_nc_u32_e32 v5, s3, v3
	v_cmp_le_u32_e64 s0, s3, v3
	v_cndmask_b32_e64 v3, v3, v5, s0
	v_subrev_nc_u32_e32 v5, s3, v3
	v_cmp_le_u32_e64 s0, s3, v3
	v_cndmask_b32_e64 v3, v3, v5, s0
	v_xor_b32_e32 v3, v3, v2
	v_sub_nc_u32_e32 v2, v3, v2
	v_cmp_gt_i32_e64 s0, s2, v2
	v_cndmask_b32_e64 v5, 0, 1, s0
.LBB27_65:
	s_or_b32 exec_lo, exec_lo, s7
	s_waitcnt vmcnt(0)
	v_mov_b32_e32 v2, v1
	s_and_saveexec_b32 s2, vcc_lo
	s_cbranch_execz .LBB27_73
; %bb.66:
	v_and_b32_e32 v2, v6, v5
	v_and_b32_e32 v3, 1, v6
                                        ; implicit-def: $vgpr6
	v_and_b32_e32 v2, 1, v2
	v_cmp_eq_u32_e32 vcc_lo, 1, v3
	v_cmp_eq_u32_e64 s0, 1, v2
	s_xor_b32 s0, s0, -1
	s_and_saveexec_b32 s3, s0
	s_xor_b32 s0, exec_lo, s3
	s_cbranch_execz .LBB27_70
; %bb.67:
	v_mov_b32_e32 v6, 1
	s_xor_b32 s7, vcc_lo, -1
	s_and_saveexec_b32 s3, s7
; %bb.68:
	v_mov_b32_e32 v1, v4
	v_mov_b32_e32 v6, v5
; %bb.69:
	s_or_b32 exec_lo, exec_lo, s3
                                        ; implicit-def: $vgpr4
.LBB27_70:
	s_or_saveexec_b32 s0, s0
	v_mov_b32_e32 v3, v1
	s_xor_b32 exec_lo, exec_lo, s0
; %bb.71:
	v_cmp_lt_f32_e32 vcc_lo, v4, v1
	v_mov_b32_e32 v6, 1
	v_cndmask_b32_e32 v3, v1, v4, vcc_lo
	v_cmp_lt_f32_e32 vcc_lo, v1, v4
	v_cndmask_b32_e32 v1, v1, v4, vcc_lo
; %bb.72:
	s_or_b32 exec_lo, exec_lo, s0
	v_mov_b32_e32 v2, v1
	v_mov_b32_e32 v1, v3
.LBB27_73:
	s_or_b32 exec_lo, exec_lo, s2
	v_mbcnt_lo_u32_b32 v3, -1, 0
	v_and_b32_e32 v4, 0xff, v6
	s_min_u32 s0, s1, 0x100
	s_mov_b32 s1, exec_lo
	v_cmp_ne_u32_e32 vcc_lo, 31, v3
	v_add_nc_u32_e32 v10, 1, v3
	v_add_co_ci_u32_e64 v5, null, 0, v3, vcc_lo
	v_lshlrev_b32_e32 v5, 2, v5
	ds_bpermute_b32 v9, v5, v4
	ds_bpermute_b32 v7, v5, v1
	ds_bpermute_b32 v8, v5, v2
	v_and_b32_e32 v5, 0xe0, v0
	v_sub_nc_u32_e64 v5, s0, v5 clamp
	v_cmpx_lt_u32_e64 v10, v5
	s_xor_b32 s1, exec_lo, s1
	s_cbranch_execz .LBB27_81
; %bb.74:
	s_waitcnt lgkmcnt(2)
	v_and_b32_e32 v4, v9, v4
	s_mov_b32 s2, exec_lo
	v_cmpx_ne_u32_e32 0, v4
	s_xor_b32 s2, exec_lo, s2
	s_cbranch_execz .LBB27_76
; %bb.75:
	s_waitcnt lgkmcnt(1)
	v_cmp_gt_f32_e32 vcc_lo, v1, v7
                                        ; implicit-def: $vgpr9
                                        ; implicit-def: $vgpr6
	v_cndmask_b32_e32 v7, v1, v7, vcc_lo
	s_waitcnt lgkmcnt(0)
	v_cmp_lt_f32_e32 vcc_lo, v2, v8
	v_cndmask_b32_e32 v8, v2, v8, vcc_lo
                                        ; implicit-def: $vgpr2
.LBB27_76:
	s_or_saveexec_b32 s2, s2
	v_mov_b32_e32 v4, 1
	s_xor_b32 exec_lo, exec_lo, s2
	s_cbranch_execz .LBB27_80
; %bb.77:
	v_and_b32_e32 v4, 1, v6
	s_mov_b32 s3, exec_lo
	v_cmpx_eq_u32_e32 1, v4
	s_cbranch_execz .LBB27_79
; %bb.78:
	v_mov_b32_e32 v9, 1
	s_waitcnt lgkmcnt(0)
	v_mov_b32_e32 v8, v2
	v_mov_b32_e32 v7, v1
.LBB27_79:
	s_or_b32 exec_lo, exec_lo, s3
	v_mov_b32_e32 v4, v9
.LBB27_80:
	s_or_b32 exec_lo, exec_lo, s2
	v_and_b32_e32 v4, 0xff, v4
	s_waitcnt lgkmcnt(1)
	v_mov_b32_e32 v1, v7
	s_waitcnt lgkmcnt(0)
	v_mov_b32_e32 v2, v8
.LBB27_81:
	s_or_b32 exec_lo, exec_lo, s1
	v_cmp_gt_u32_e32 vcc_lo, 30, v3
	s_waitcnt lgkmcnt(2)
	v_add_nc_u32_e32 v9, 2, v3
	s_mov_b32 s1, exec_lo
	v_cndmask_b32_e64 v6, 0, 2, vcc_lo
	v_add_lshl_u32 v6, v6, v3, 2
	s_waitcnt lgkmcnt(0)
	ds_bpermute_b32 v8, v6, v4
	ds_bpermute_b32 v7, v6, v1
	;; [unrolled: 1-line block ×3, first 2 shown]
	v_cmpx_lt_u32_e64 v9, v5
	s_cbranch_execz .LBB27_89
; %bb.82:
	s_waitcnt lgkmcnt(2)
	v_and_b32_e32 v9, v4, v8
	s_mov_b32 s2, exec_lo
	v_and_b32_e32 v9, 1, v9
	v_cmpx_eq_u32_e32 1, v9
	s_xor_b32 s2, exec_lo, s2
	s_cbranch_execz .LBB27_84
; %bb.83:
	s_waitcnt lgkmcnt(1)
	v_cmp_gt_f32_e32 vcc_lo, v1, v7
                                        ; implicit-def: $vgpr8
                                        ; implicit-def: $vgpr4
	v_cndmask_b32_e32 v7, v1, v7, vcc_lo
	s_waitcnt lgkmcnt(0)
	v_cmp_lt_f32_e32 vcc_lo, v2, v6
	v_cndmask_b32_e32 v6, v2, v6, vcc_lo
                                        ; implicit-def: $vgpr2
.LBB27_84:
	s_or_saveexec_b32 s2, s2
	v_mov_b32_e32 v9, 1
	s_xor_b32 exec_lo, exec_lo, s2
	s_cbranch_execz .LBB27_88
; %bb.85:
	v_and_b32_e32 v4, 1, v4
	s_mov_b32 s3, exec_lo
	v_cmpx_eq_u32_e32 1, v4
	s_cbranch_execz .LBB27_87
; %bb.86:
	v_mov_b32_e32 v8, 1
	s_waitcnt lgkmcnt(0)
	v_mov_b32_e32 v6, v2
	v_mov_b32_e32 v7, v1
.LBB27_87:
	s_or_b32 exec_lo, exec_lo, s3
	v_mov_b32_e32 v9, v8
.LBB27_88:
	s_or_b32 exec_lo, exec_lo, s2
	v_and_b32_e32 v4, 0xff, v9
	s_waitcnt lgkmcnt(1)
	v_mov_b32_e32 v1, v7
	s_waitcnt lgkmcnt(0)
	v_mov_b32_e32 v2, v6
.LBB27_89:
	s_or_b32 exec_lo, exec_lo, s1
	v_cmp_gt_u32_e32 vcc_lo, 28, v3
	v_add_nc_u32_e32 v9, 4, v3
	s_mov_b32 s1, exec_lo
	s_waitcnt lgkmcnt(0)
	v_cndmask_b32_e64 v6, 0, 4, vcc_lo
	v_add_lshl_u32 v6, v6, v3, 2
	ds_bpermute_b32 v8, v6, v4
	ds_bpermute_b32 v7, v6, v1
	;; [unrolled: 1-line block ×3, first 2 shown]
	v_cmpx_lt_u32_e64 v9, v5
	s_cbranch_execz .LBB27_97
; %bb.90:
	s_waitcnt lgkmcnt(2)
	v_and_b32_e32 v9, v4, v8
	s_mov_b32 s2, exec_lo
	v_and_b32_e32 v9, 1, v9
	v_cmpx_eq_u32_e32 1, v9
	s_xor_b32 s2, exec_lo, s2
	s_cbranch_execz .LBB27_92
; %bb.91:
	s_waitcnt lgkmcnt(1)
	v_cmp_gt_f32_e32 vcc_lo, v1, v7
                                        ; implicit-def: $vgpr8
                                        ; implicit-def: $vgpr4
	v_cndmask_b32_e32 v7, v1, v7, vcc_lo
	s_waitcnt lgkmcnt(0)
	v_cmp_lt_f32_e32 vcc_lo, v2, v6
	v_cndmask_b32_e32 v6, v2, v6, vcc_lo
                                        ; implicit-def: $vgpr2
.LBB27_92:
	s_or_saveexec_b32 s2, s2
	v_mov_b32_e32 v9, 1
	s_xor_b32 exec_lo, exec_lo, s2
	s_cbranch_execz .LBB27_96
; %bb.93:
	v_and_b32_e32 v4, 1, v4
	s_mov_b32 s3, exec_lo
	v_cmpx_eq_u32_e32 1, v4
	s_cbranch_execz .LBB27_95
; %bb.94:
	v_mov_b32_e32 v8, 1
	s_waitcnt lgkmcnt(0)
	v_mov_b32_e32 v6, v2
	v_mov_b32_e32 v7, v1
.LBB27_95:
	s_or_b32 exec_lo, exec_lo, s3
	v_mov_b32_e32 v9, v8
.LBB27_96:
	s_or_b32 exec_lo, exec_lo, s2
	v_and_b32_e32 v4, 0xff, v9
	s_waitcnt lgkmcnt(1)
	v_mov_b32_e32 v1, v7
	s_waitcnt lgkmcnt(0)
	v_mov_b32_e32 v2, v6
.LBB27_97:
	s_or_b32 exec_lo, exec_lo, s1
	v_cmp_gt_u32_e32 vcc_lo, 24, v3
	v_add_nc_u32_e32 v9, 8, v3
	s_mov_b32 s1, exec_lo
	s_waitcnt lgkmcnt(0)
	v_cndmask_b32_e64 v6, 0, 8, vcc_lo
	v_add_lshl_u32 v6, v6, v3, 2
	ds_bpermute_b32 v8, v6, v4
	ds_bpermute_b32 v7, v6, v1
	;; [unrolled: 1-line block ×3, first 2 shown]
	v_cmpx_lt_u32_e64 v9, v5
	s_cbranch_execz .LBB27_105
; %bb.98:
	s_waitcnt lgkmcnt(2)
	v_and_b32_e32 v9, v4, v8
	s_mov_b32 s2, exec_lo
	v_and_b32_e32 v9, 1, v9
	v_cmpx_eq_u32_e32 1, v9
	s_xor_b32 s2, exec_lo, s2
	s_cbranch_execz .LBB27_100
; %bb.99:
	s_waitcnt lgkmcnt(1)
	v_cmp_gt_f32_e32 vcc_lo, v1, v7
                                        ; implicit-def: $vgpr8
                                        ; implicit-def: $vgpr4
	v_cndmask_b32_e32 v7, v1, v7, vcc_lo
	s_waitcnt lgkmcnt(0)
	v_cmp_lt_f32_e32 vcc_lo, v2, v6
	v_cndmask_b32_e32 v6, v2, v6, vcc_lo
                                        ; implicit-def: $vgpr2
.LBB27_100:
	s_or_saveexec_b32 s2, s2
	v_mov_b32_e32 v9, 1
	s_xor_b32 exec_lo, exec_lo, s2
	s_cbranch_execz .LBB27_104
; %bb.101:
	v_and_b32_e32 v4, 1, v4
	s_mov_b32 s3, exec_lo
	v_cmpx_eq_u32_e32 1, v4
	s_cbranch_execz .LBB27_103
; %bb.102:
	v_mov_b32_e32 v8, 1
	s_waitcnt lgkmcnt(0)
	v_mov_b32_e32 v6, v2
	v_mov_b32_e32 v7, v1
.LBB27_103:
	s_or_b32 exec_lo, exec_lo, s3
	v_mov_b32_e32 v9, v8
.LBB27_104:
	s_or_b32 exec_lo, exec_lo, s2
	v_and_b32_e32 v4, 0xff, v9
	s_waitcnt lgkmcnt(1)
	v_mov_b32_e32 v1, v7
	s_waitcnt lgkmcnt(0)
	v_mov_b32_e32 v2, v6
.LBB27_105:
	s_or_b32 exec_lo, exec_lo, s1
	s_waitcnt lgkmcnt(0)
	v_lshlrev_b32_e32 v6, 2, v3
	v_add_nc_u32_e32 v10, 16, v3
	v_or_b32_e32 v8, 64, v6
	v_cmp_lt_u32_e32 vcc_lo, v10, v5
	v_mov_b32_e32 v5, v4
	ds_bpermute_b32 v9, v8, v4
	ds_bpermute_b32 v7, v8, v1
	;; [unrolled: 1-line block ×3, first 2 shown]
	s_and_saveexec_b32 s1, vcc_lo
	s_cbranch_execz .LBB27_113
; %bb.106:
	s_waitcnt lgkmcnt(2)
	v_and_b32_e32 v5, v4, v9
	s_mov_b32 s2, exec_lo
	v_and_b32_e32 v5, 1, v5
	v_cmpx_eq_u32_e32 1, v5
	s_xor_b32 s2, exec_lo, s2
	s_cbranch_execz .LBB27_108
; %bb.107:
	s_waitcnt lgkmcnt(1)
	v_cmp_gt_f32_e32 vcc_lo, v1, v7
                                        ; implicit-def: $vgpr9
                                        ; implicit-def: $vgpr4
	v_cndmask_b32_e32 v7, v1, v7, vcc_lo
	s_waitcnt lgkmcnt(0)
	v_cmp_lt_f32_e32 vcc_lo, v2, v8
	v_cndmask_b32_e32 v8, v2, v8, vcc_lo
                                        ; implicit-def: $vgpr2
.LBB27_108:
	s_or_saveexec_b32 s2, s2
	v_mov_b32_e32 v5, 1
	s_xor_b32 exec_lo, exec_lo, s2
	s_cbranch_execz .LBB27_112
; %bb.109:
	v_and_b32_e32 v4, 1, v4
	s_mov_b32 s3, exec_lo
	v_cmpx_eq_u32_e32 1, v4
	s_cbranch_execz .LBB27_111
; %bb.110:
	v_mov_b32_e32 v9, 1
	s_waitcnt lgkmcnt(0)
	v_mov_b32_e32 v8, v2
	v_mov_b32_e32 v7, v1
.LBB27_111:
	s_or_b32 exec_lo, exec_lo, s3
	v_mov_b32_e32 v5, v9
.LBB27_112:
	s_or_b32 exec_lo, exec_lo, s2
	v_and_b32_e32 v4, 0xff, v5
	s_waitcnt lgkmcnt(0)
	v_mov_b32_e32 v2, v8
	v_mov_b32_e32 v1, v7
.LBB27_113:
	s_or_b32 exec_lo, exec_lo, s1
	s_mov_b32 s1, exec_lo
	v_cmpx_eq_u32_e32 0, v3
	s_cbranch_execz .LBB27_115
; %bb.114:
	s_waitcnt lgkmcnt(1)
	v_lshrrev_b32_e32 v7, 5, v0
	v_mul_u32_u24_e32 v7, 12, v7
	ds_write_b8 v7, v5
	ds_write2_b32 v7, v1, v2 offset0:1 offset1:2
.LBB27_115:
	s_or_b32 exec_lo, exec_lo, s1
	s_mov_b32 s1, exec_lo
	s_waitcnt lgkmcnt(0)
	s_barrier
	buffer_gl0_inv
	v_cmpx_gt_u32_e32 8, v0
	s_cbranch_execz .LBB27_141
; %bb.116:
	v_mul_u32_u24_e32 v1, 12, v3
	v_and_b32_e32 v5, 7, v3
	s_add_i32 s0, s0, 31
	ds_read_u8 v10, v1
	ds_read2_b32 v[1:2], v1 offset0:1 offset1:2
	v_cmp_ne_u32_e32 vcc_lo, 7, v5
	v_add_nc_u32_e32 v11, 1, v5
	s_lshr_b32 s0, s0, 5
	v_add_co_ci_u32_e64 v4, null, 0, v3, vcc_lo
	v_cmp_gt_u32_e32 vcc_lo, s0, v11
	v_lshlrev_b32_e32 v8, 2, v4
	s_waitcnt lgkmcnt(1)
	v_and_b32_e32 v4, 0xff, v10
	s_waitcnt lgkmcnt(0)
	ds_bpermute_b32 v7, v8, v1
	v_mov_b32_e32 v11, v1
	v_mov_b32_e32 v12, v2
	ds_bpermute_b32 v9, v8, v4
	ds_bpermute_b32 v8, v8, v2
	s_and_saveexec_b32 s2, vcc_lo
	s_cbranch_execz .LBB27_124
; %bb.117:
	s_waitcnt lgkmcnt(1)
	v_and_b32_e32 v4, v4, v9
	s_mov_b32 s3, exec_lo
	v_and_b32_e32 v4, 1, v4
	v_cmpx_eq_u32_e32 1, v4
	s_xor_b32 s3, exec_lo, s3
	s_cbranch_execz .LBB27_119
; %bb.118:
	v_cmp_gt_f32_e32 vcc_lo, v1, v7
                                        ; implicit-def: $vgpr9
                                        ; implicit-def: $vgpr10
	v_cndmask_b32_e32 v7, v1, v7, vcc_lo
	s_waitcnt lgkmcnt(0)
	v_cmp_lt_f32_e32 vcc_lo, v2, v8
	v_cndmask_b32_e32 v8, v2, v8, vcc_lo
                                        ; implicit-def: $vgpr2
.LBB27_119:
	s_or_saveexec_b32 s3, s3
	v_mov_b32_e32 v4, 1
	s_xor_b32 exec_lo, exec_lo, s3
	s_cbranch_execz .LBB27_123
; %bb.120:
	v_and_b32_e32 v4, 1, v10
	s_mov_b32 s7, exec_lo
	v_cmpx_eq_u32_e32 1, v4
	s_cbranch_execz .LBB27_122
; %bb.121:
	v_mov_b32_e32 v9, 1
	s_waitcnt lgkmcnt(0)
	v_mov_b32_e32 v8, v2
	v_mov_b32_e32 v7, v1
.LBB27_122:
	s_or_b32 exec_lo, exec_lo, s7
	v_mov_b32_e32 v4, v9
.LBB27_123:
	s_or_b32 exec_lo, exec_lo, s3
	v_and_b32_e32 v4, 0xff, v4
	v_mov_b32_e32 v11, v7
	s_waitcnt lgkmcnt(0)
	v_mov_b32_e32 v12, v8
	v_mov_b32_e32 v2, v8
	;; [unrolled: 1-line block ×3, first 2 shown]
.LBB27_124:
	s_or_b32 exec_lo, exec_lo, s2
	v_cmp_gt_u32_e32 vcc_lo, 6, v5
	s_waitcnt lgkmcnt(1)
	v_add_nc_u32_e32 v9, 2, v5
	s_mov_b32 s2, exec_lo
	v_cndmask_b32_e64 v7, 0, 2, vcc_lo
	v_add_lshl_u32 v7, v7, v3, 2
	s_waitcnt lgkmcnt(0)
	ds_bpermute_b32 v8, v7, v4
	ds_bpermute_b32 v3, v7, v11
	;; [unrolled: 1-line block ×3, first 2 shown]
	v_cmpx_gt_u32_e64 s0, v9
	s_cbranch_execz .LBB27_132
; %bb.125:
	s_waitcnt lgkmcnt(2)
	v_and_b32_e32 v9, v4, v8
	s_mov_b32 s3, exec_lo
	v_and_b32_e32 v9, 1, v9
	v_cmpx_eq_u32_e32 1, v9
	s_xor_b32 s3, exec_lo, s3
	s_cbranch_execz .LBB27_127
; %bb.126:
	s_waitcnt lgkmcnt(1)
	v_cmp_gt_f32_e32 vcc_lo, v1, v3
                                        ; implicit-def: $vgpr8
                                        ; implicit-def: $vgpr4
	v_cndmask_b32_e32 v3, v1, v3, vcc_lo
	s_waitcnt lgkmcnt(0)
	v_cmp_lt_f32_e32 vcc_lo, v2, v7
	v_cndmask_b32_e32 v7, v2, v7, vcc_lo
                                        ; implicit-def: $vgpr2
.LBB27_127:
	s_or_saveexec_b32 s3, s3
	v_mov_b32_e32 v9, 1
	s_xor_b32 exec_lo, exec_lo, s3
	s_cbranch_execz .LBB27_131
; %bb.128:
	v_and_b32_e32 v4, 1, v4
	s_mov_b32 s7, exec_lo
	v_cmpx_eq_u32_e32 1, v4
	s_cbranch_execz .LBB27_130
; %bb.129:
	v_mov_b32_e32 v8, 1
	s_waitcnt lgkmcnt(0)
	v_mov_b32_e32 v7, v2
	v_mov_b32_e32 v3, v1
.LBB27_130:
	s_or_b32 exec_lo, exec_lo, s7
	v_mov_b32_e32 v9, v8
.LBB27_131:
	s_or_b32 exec_lo, exec_lo, s3
	v_and_b32_e32 v4, 0xff, v9
	s_waitcnt lgkmcnt(1)
	v_mov_b32_e32 v11, v3
	s_waitcnt lgkmcnt(0)
	v_mov_b32_e32 v12, v7
	v_mov_b32_e32 v2, v7
	v_mov_b32_e32 v1, v3
.LBB27_132:
	s_or_b32 exec_lo, exec_lo, s2
	v_or_b32_e32 v6, 16, v6
	v_add_nc_u32_e32 v5, 4, v5
	s_waitcnt lgkmcnt(0)
	ds_bpermute_b32 v7, v6, v4
	ds_bpermute_b32 v3, v6, v11
	;; [unrolled: 1-line block ×3, first 2 shown]
	v_cmp_gt_u32_e32 vcc_lo, s0, v5
	s_and_saveexec_b32 s0, vcc_lo
	s_cbranch_execz .LBB27_140
; %bb.133:
	s_waitcnt lgkmcnt(2)
	v_and_b32_e32 v5, v4, v7
	s_mov_b32 s2, exec_lo
	v_and_b32_e32 v5, 1, v5
	v_cmpx_eq_u32_e32 1, v5
	s_xor_b32 s2, exec_lo, s2
	s_cbranch_execz .LBB27_135
; %bb.134:
	s_waitcnt lgkmcnt(1)
	v_cmp_gt_f32_e32 vcc_lo, v1, v3
                                        ; implicit-def: $vgpr7
                                        ; implicit-def: $vgpr4
	v_cndmask_b32_e32 v3, v1, v3, vcc_lo
	s_waitcnt lgkmcnt(0)
	v_cmp_lt_f32_e32 vcc_lo, v2, v6
	v_cndmask_b32_e32 v6, v2, v6, vcc_lo
                                        ; implicit-def: $vgpr2
.LBB27_135:
	s_or_saveexec_b32 s2, s2
	v_mov_b32_e32 v5, 1
	s_xor_b32 exec_lo, exec_lo, s2
	s_cbranch_execz .LBB27_139
; %bb.136:
	v_and_b32_e32 v4, 1, v4
	s_mov_b32 s3, exec_lo
	v_cmpx_eq_u32_e32 1, v4
	s_cbranch_execz .LBB27_138
; %bb.137:
	v_mov_b32_e32 v7, 1
	s_waitcnt lgkmcnt(0)
	v_mov_b32_e32 v6, v2
	v_mov_b32_e32 v3, v1
.LBB27_138:
	s_or_b32 exec_lo, exec_lo, s3
	v_mov_b32_e32 v5, v7
.LBB27_139:
	s_or_b32 exec_lo, exec_lo, s2
	s_waitcnt lgkmcnt(0)
	v_mov_b32_e32 v2, v6
	v_mov_b32_e32 v1, v3
	;; [unrolled: 1-line block ×3, first 2 shown]
.LBB27_140:
	s_or_b32 exec_lo, exec_lo, s0
.LBB27_141:
	s_or_b32 exec_lo, exec_lo, s1
.LBB27_142:
	s_load_dword s0, s[4:5], 0x40
	s_mov_b32 s1, exec_lo
	v_cmpx_eq_u32_e32 0, v0
	s_cbranch_execz .LBB27_144
; %bb.143:
	s_mul_i32 s1, s16, s15
	s_mul_hi_u32 s2, s16, s14
	s_mul_i32 s3, s17, s14
	s_add_i32 s1, s2, s1
	s_mul_i32 s2, s16, s14
	s_add_i32 s1, s1, s3
	s_mul_hi_u32 s3, s2, 12
	s_mul_i32 s1, s1, 12
	s_mul_i32 s2, s2, 12
	s_add_i32 s3, s3, s1
	s_add_u32 s1, s12, s2
	s_addc_u32 s2, s13, s3
	s_cmp_eq_u64 s[10:11], 0
	s_waitcnt lgkmcnt(0)
	v_mov_b32_e32 v3, 0
	s_cselect_b32 s3, -1, 0
	v_cndmask_b32_e64 v0, v4, s0, s3
	s_mul_i32 s0, s6, 12
	v_cndmask_b32_e64 v2, v2, s9, s3
	v_cndmask_b32_e64 v1, v1, s8, s3
	s_mul_hi_u32 s3, s6, 12
	s_add_u32 s0, s1, s0
	s_addc_u32 s1, s2, s3
	global_store_byte v3, v0, s[0:1]
	global_store_dwordx2 v3, v[1:2], s[0:1] offset:4
.LBB27_144:
	s_endpgm
	.section	.rodata,"a",@progbits
	.p2align	6, 0x0
	.amdhsa_kernel _ZN7rocprim17ROCPRIM_400000_NS6detail17trampoline_kernelINS0_14default_configENS1_22reduce_config_selectorIN6thrust23THRUST_200600_302600_NS5tupleIbffNS6_9null_typeES8_S8_S8_S8_S8_S8_EEEEZNS1_11reduce_implILb1ES3_NS6_11hip_rocprim26transform_input_iterator_tIS9_NS6_12zip_iteratorINS7_INS6_17counting_iteratorIiNS6_11use_defaultESG_SG_EENS6_6detail15normal_iteratorINS6_10device_ptrIfEEEES8_S8_S8_S8_S8_S8_S8_S8_EEEE15transform_tupleIifEEEPS9_S9_12reduce_tupleIifEEE10hipError_tPvRmT1_T2_T3_mT4_P12ihipStream_tbEUlT_E0_NS1_11comp_targetILNS1_3genE8ELNS1_11target_archE1030ELNS1_3gpuE2ELNS1_3repE0EEENS1_30default_config_static_selectorELNS0_4arch9wavefront6targetE0EEEvSY_
		.amdhsa_group_segment_fixed_size 192
		.amdhsa_private_segment_fixed_size 0
		.amdhsa_kernarg_size 80
		.amdhsa_user_sgpr_count 6
		.amdhsa_user_sgpr_private_segment_buffer 1
		.amdhsa_user_sgpr_dispatch_ptr 0
		.amdhsa_user_sgpr_queue_ptr 0
		.amdhsa_user_sgpr_kernarg_segment_ptr 1
		.amdhsa_user_sgpr_dispatch_id 0
		.amdhsa_user_sgpr_flat_scratch_init 0
		.amdhsa_user_sgpr_private_segment_size 0
		.amdhsa_wavefront_size32 1
		.amdhsa_uses_dynamic_stack 0
		.amdhsa_system_sgpr_private_segment_wavefront_offset 0
		.amdhsa_system_sgpr_workgroup_id_x 1
		.amdhsa_system_sgpr_workgroup_id_y 0
		.amdhsa_system_sgpr_workgroup_id_z 0
		.amdhsa_system_sgpr_workgroup_info 0
		.amdhsa_system_vgpr_workitem_id 0
		.amdhsa_next_free_vgpr 13
		.amdhsa_next_free_sgpr 24
		.amdhsa_reserve_vcc 1
		.amdhsa_reserve_flat_scratch 0
		.amdhsa_float_round_mode_32 0
		.amdhsa_float_round_mode_16_64 0
		.amdhsa_float_denorm_mode_32 3
		.amdhsa_float_denorm_mode_16_64 3
		.amdhsa_dx10_clamp 1
		.amdhsa_ieee_mode 1
		.amdhsa_fp16_overflow 0
		.amdhsa_workgroup_processor_mode 1
		.amdhsa_memory_ordered 1
		.amdhsa_forward_progress 1
		.amdhsa_shared_vgpr_count 0
		.amdhsa_exception_fp_ieee_invalid_op 0
		.amdhsa_exception_fp_denorm_src 0
		.amdhsa_exception_fp_ieee_div_zero 0
		.amdhsa_exception_fp_ieee_overflow 0
		.amdhsa_exception_fp_ieee_underflow 0
		.amdhsa_exception_fp_ieee_inexact 0
		.amdhsa_exception_int_div_zero 0
	.end_amdhsa_kernel
	.section	.text._ZN7rocprim17ROCPRIM_400000_NS6detail17trampoline_kernelINS0_14default_configENS1_22reduce_config_selectorIN6thrust23THRUST_200600_302600_NS5tupleIbffNS6_9null_typeES8_S8_S8_S8_S8_S8_EEEEZNS1_11reduce_implILb1ES3_NS6_11hip_rocprim26transform_input_iterator_tIS9_NS6_12zip_iteratorINS7_INS6_17counting_iteratorIiNS6_11use_defaultESG_SG_EENS6_6detail15normal_iteratorINS6_10device_ptrIfEEEES8_S8_S8_S8_S8_S8_S8_S8_EEEE15transform_tupleIifEEEPS9_S9_12reduce_tupleIifEEE10hipError_tPvRmT1_T2_T3_mT4_P12ihipStream_tbEUlT_E0_NS1_11comp_targetILNS1_3genE8ELNS1_11target_archE1030ELNS1_3gpuE2ELNS1_3repE0EEENS1_30default_config_static_selectorELNS0_4arch9wavefront6targetE0EEEvSY_,"axG",@progbits,_ZN7rocprim17ROCPRIM_400000_NS6detail17trampoline_kernelINS0_14default_configENS1_22reduce_config_selectorIN6thrust23THRUST_200600_302600_NS5tupleIbffNS6_9null_typeES8_S8_S8_S8_S8_S8_EEEEZNS1_11reduce_implILb1ES3_NS6_11hip_rocprim26transform_input_iterator_tIS9_NS6_12zip_iteratorINS7_INS6_17counting_iteratorIiNS6_11use_defaultESG_SG_EENS6_6detail15normal_iteratorINS6_10device_ptrIfEEEES8_S8_S8_S8_S8_S8_S8_S8_EEEE15transform_tupleIifEEEPS9_S9_12reduce_tupleIifEEE10hipError_tPvRmT1_T2_T3_mT4_P12ihipStream_tbEUlT_E0_NS1_11comp_targetILNS1_3genE8ELNS1_11target_archE1030ELNS1_3gpuE2ELNS1_3repE0EEENS1_30default_config_static_selectorELNS0_4arch9wavefront6targetE0EEEvSY_,comdat
.Lfunc_end27:
	.size	_ZN7rocprim17ROCPRIM_400000_NS6detail17trampoline_kernelINS0_14default_configENS1_22reduce_config_selectorIN6thrust23THRUST_200600_302600_NS5tupleIbffNS6_9null_typeES8_S8_S8_S8_S8_S8_EEEEZNS1_11reduce_implILb1ES3_NS6_11hip_rocprim26transform_input_iterator_tIS9_NS6_12zip_iteratorINS7_INS6_17counting_iteratorIiNS6_11use_defaultESG_SG_EENS6_6detail15normal_iteratorINS6_10device_ptrIfEEEES8_S8_S8_S8_S8_S8_S8_S8_EEEE15transform_tupleIifEEEPS9_S9_12reduce_tupleIifEEE10hipError_tPvRmT1_T2_T3_mT4_P12ihipStream_tbEUlT_E0_NS1_11comp_targetILNS1_3genE8ELNS1_11target_archE1030ELNS1_3gpuE2ELNS1_3repE0EEENS1_30default_config_static_selectorELNS0_4arch9wavefront6targetE0EEEvSY_, .Lfunc_end27-_ZN7rocprim17ROCPRIM_400000_NS6detail17trampoline_kernelINS0_14default_configENS1_22reduce_config_selectorIN6thrust23THRUST_200600_302600_NS5tupleIbffNS6_9null_typeES8_S8_S8_S8_S8_S8_EEEEZNS1_11reduce_implILb1ES3_NS6_11hip_rocprim26transform_input_iterator_tIS9_NS6_12zip_iteratorINS7_INS6_17counting_iteratorIiNS6_11use_defaultESG_SG_EENS6_6detail15normal_iteratorINS6_10device_ptrIfEEEES8_S8_S8_S8_S8_S8_S8_S8_EEEE15transform_tupleIifEEEPS9_S9_12reduce_tupleIifEEE10hipError_tPvRmT1_T2_T3_mT4_P12ihipStream_tbEUlT_E0_NS1_11comp_targetILNS1_3genE8ELNS1_11target_archE1030ELNS1_3gpuE2ELNS1_3repE0EEENS1_30default_config_static_selectorELNS0_4arch9wavefront6targetE0EEEvSY_
                                        ; -- End function
	.set _ZN7rocprim17ROCPRIM_400000_NS6detail17trampoline_kernelINS0_14default_configENS1_22reduce_config_selectorIN6thrust23THRUST_200600_302600_NS5tupleIbffNS6_9null_typeES8_S8_S8_S8_S8_S8_EEEEZNS1_11reduce_implILb1ES3_NS6_11hip_rocprim26transform_input_iterator_tIS9_NS6_12zip_iteratorINS7_INS6_17counting_iteratorIiNS6_11use_defaultESG_SG_EENS6_6detail15normal_iteratorINS6_10device_ptrIfEEEES8_S8_S8_S8_S8_S8_S8_S8_EEEE15transform_tupleIifEEEPS9_S9_12reduce_tupleIifEEE10hipError_tPvRmT1_T2_T3_mT4_P12ihipStream_tbEUlT_E0_NS1_11comp_targetILNS1_3genE8ELNS1_11target_archE1030ELNS1_3gpuE2ELNS1_3repE0EEENS1_30default_config_static_selectorELNS0_4arch9wavefront6targetE0EEEvSY_.num_vgpr, 13
	.set _ZN7rocprim17ROCPRIM_400000_NS6detail17trampoline_kernelINS0_14default_configENS1_22reduce_config_selectorIN6thrust23THRUST_200600_302600_NS5tupleIbffNS6_9null_typeES8_S8_S8_S8_S8_S8_EEEEZNS1_11reduce_implILb1ES3_NS6_11hip_rocprim26transform_input_iterator_tIS9_NS6_12zip_iteratorINS7_INS6_17counting_iteratorIiNS6_11use_defaultESG_SG_EENS6_6detail15normal_iteratorINS6_10device_ptrIfEEEES8_S8_S8_S8_S8_S8_S8_S8_EEEE15transform_tupleIifEEEPS9_S9_12reduce_tupleIifEEE10hipError_tPvRmT1_T2_T3_mT4_P12ihipStream_tbEUlT_E0_NS1_11comp_targetILNS1_3genE8ELNS1_11target_archE1030ELNS1_3gpuE2ELNS1_3repE0EEENS1_30default_config_static_selectorELNS0_4arch9wavefront6targetE0EEEvSY_.num_agpr, 0
	.set _ZN7rocprim17ROCPRIM_400000_NS6detail17trampoline_kernelINS0_14default_configENS1_22reduce_config_selectorIN6thrust23THRUST_200600_302600_NS5tupleIbffNS6_9null_typeES8_S8_S8_S8_S8_S8_EEEEZNS1_11reduce_implILb1ES3_NS6_11hip_rocprim26transform_input_iterator_tIS9_NS6_12zip_iteratorINS7_INS6_17counting_iteratorIiNS6_11use_defaultESG_SG_EENS6_6detail15normal_iteratorINS6_10device_ptrIfEEEES8_S8_S8_S8_S8_S8_S8_S8_EEEE15transform_tupleIifEEEPS9_S9_12reduce_tupleIifEEE10hipError_tPvRmT1_T2_T3_mT4_P12ihipStream_tbEUlT_E0_NS1_11comp_targetILNS1_3genE8ELNS1_11target_archE1030ELNS1_3gpuE2ELNS1_3repE0EEENS1_30default_config_static_selectorELNS0_4arch9wavefront6targetE0EEEvSY_.numbered_sgpr, 24
	.set _ZN7rocprim17ROCPRIM_400000_NS6detail17trampoline_kernelINS0_14default_configENS1_22reduce_config_selectorIN6thrust23THRUST_200600_302600_NS5tupleIbffNS6_9null_typeES8_S8_S8_S8_S8_S8_EEEEZNS1_11reduce_implILb1ES3_NS6_11hip_rocprim26transform_input_iterator_tIS9_NS6_12zip_iteratorINS7_INS6_17counting_iteratorIiNS6_11use_defaultESG_SG_EENS6_6detail15normal_iteratorINS6_10device_ptrIfEEEES8_S8_S8_S8_S8_S8_S8_S8_EEEE15transform_tupleIifEEEPS9_S9_12reduce_tupleIifEEE10hipError_tPvRmT1_T2_T3_mT4_P12ihipStream_tbEUlT_E0_NS1_11comp_targetILNS1_3genE8ELNS1_11target_archE1030ELNS1_3gpuE2ELNS1_3repE0EEENS1_30default_config_static_selectorELNS0_4arch9wavefront6targetE0EEEvSY_.num_named_barrier, 0
	.set _ZN7rocprim17ROCPRIM_400000_NS6detail17trampoline_kernelINS0_14default_configENS1_22reduce_config_selectorIN6thrust23THRUST_200600_302600_NS5tupleIbffNS6_9null_typeES8_S8_S8_S8_S8_S8_EEEEZNS1_11reduce_implILb1ES3_NS6_11hip_rocprim26transform_input_iterator_tIS9_NS6_12zip_iteratorINS7_INS6_17counting_iteratorIiNS6_11use_defaultESG_SG_EENS6_6detail15normal_iteratorINS6_10device_ptrIfEEEES8_S8_S8_S8_S8_S8_S8_S8_EEEE15transform_tupleIifEEEPS9_S9_12reduce_tupleIifEEE10hipError_tPvRmT1_T2_T3_mT4_P12ihipStream_tbEUlT_E0_NS1_11comp_targetILNS1_3genE8ELNS1_11target_archE1030ELNS1_3gpuE2ELNS1_3repE0EEENS1_30default_config_static_selectorELNS0_4arch9wavefront6targetE0EEEvSY_.private_seg_size, 0
	.set _ZN7rocprim17ROCPRIM_400000_NS6detail17trampoline_kernelINS0_14default_configENS1_22reduce_config_selectorIN6thrust23THRUST_200600_302600_NS5tupleIbffNS6_9null_typeES8_S8_S8_S8_S8_S8_EEEEZNS1_11reduce_implILb1ES3_NS6_11hip_rocprim26transform_input_iterator_tIS9_NS6_12zip_iteratorINS7_INS6_17counting_iteratorIiNS6_11use_defaultESG_SG_EENS6_6detail15normal_iteratorINS6_10device_ptrIfEEEES8_S8_S8_S8_S8_S8_S8_S8_EEEE15transform_tupleIifEEEPS9_S9_12reduce_tupleIifEEE10hipError_tPvRmT1_T2_T3_mT4_P12ihipStream_tbEUlT_E0_NS1_11comp_targetILNS1_3genE8ELNS1_11target_archE1030ELNS1_3gpuE2ELNS1_3repE0EEENS1_30default_config_static_selectorELNS0_4arch9wavefront6targetE0EEEvSY_.uses_vcc, 1
	.set _ZN7rocprim17ROCPRIM_400000_NS6detail17trampoline_kernelINS0_14default_configENS1_22reduce_config_selectorIN6thrust23THRUST_200600_302600_NS5tupleIbffNS6_9null_typeES8_S8_S8_S8_S8_S8_EEEEZNS1_11reduce_implILb1ES3_NS6_11hip_rocprim26transform_input_iterator_tIS9_NS6_12zip_iteratorINS7_INS6_17counting_iteratorIiNS6_11use_defaultESG_SG_EENS6_6detail15normal_iteratorINS6_10device_ptrIfEEEES8_S8_S8_S8_S8_S8_S8_S8_EEEE15transform_tupleIifEEEPS9_S9_12reduce_tupleIifEEE10hipError_tPvRmT1_T2_T3_mT4_P12ihipStream_tbEUlT_E0_NS1_11comp_targetILNS1_3genE8ELNS1_11target_archE1030ELNS1_3gpuE2ELNS1_3repE0EEENS1_30default_config_static_selectorELNS0_4arch9wavefront6targetE0EEEvSY_.uses_flat_scratch, 0
	.set _ZN7rocprim17ROCPRIM_400000_NS6detail17trampoline_kernelINS0_14default_configENS1_22reduce_config_selectorIN6thrust23THRUST_200600_302600_NS5tupleIbffNS6_9null_typeES8_S8_S8_S8_S8_S8_EEEEZNS1_11reduce_implILb1ES3_NS6_11hip_rocprim26transform_input_iterator_tIS9_NS6_12zip_iteratorINS7_INS6_17counting_iteratorIiNS6_11use_defaultESG_SG_EENS6_6detail15normal_iteratorINS6_10device_ptrIfEEEES8_S8_S8_S8_S8_S8_S8_S8_EEEE15transform_tupleIifEEEPS9_S9_12reduce_tupleIifEEE10hipError_tPvRmT1_T2_T3_mT4_P12ihipStream_tbEUlT_E0_NS1_11comp_targetILNS1_3genE8ELNS1_11target_archE1030ELNS1_3gpuE2ELNS1_3repE0EEENS1_30default_config_static_selectorELNS0_4arch9wavefront6targetE0EEEvSY_.has_dyn_sized_stack, 0
	.set _ZN7rocprim17ROCPRIM_400000_NS6detail17trampoline_kernelINS0_14default_configENS1_22reduce_config_selectorIN6thrust23THRUST_200600_302600_NS5tupleIbffNS6_9null_typeES8_S8_S8_S8_S8_S8_EEEEZNS1_11reduce_implILb1ES3_NS6_11hip_rocprim26transform_input_iterator_tIS9_NS6_12zip_iteratorINS7_INS6_17counting_iteratorIiNS6_11use_defaultESG_SG_EENS6_6detail15normal_iteratorINS6_10device_ptrIfEEEES8_S8_S8_S8_S8_S8_S8_S8_EEEE15transform_tupleIifEEEPS9_S9_12reduce_tupleIifEEE10hipError_tPvRmT1_T2_T3_mT4_P12ihipStream_tbEUlT_E0_NS1_11comp_targetILNS1_3genE8ELNS1_11target_archE1030ELNS1_3gpuE2ELNS1_3repE0EEENS1_30default_config_static_selectorELNS0_4arch9wavefront6targetE0EEEvSY_.has_recursion, 0
	.set _ZN7rocprim17ROCPRIM_400000_NS6detail17trampoline_kernelINS0_14default_configENS1_22reduce_config_selectorIN6thrust23THRUST_200600_302600_NS5tupleIbffNS6_9null_typeES8_S8_S8_S8_S8_S8_EEEEZNS1_11reduce_implILb1ES3_NS6_11hip_rocprim26transform_input_iterator_tIS9_NS6_12zip_iteratorINS7_INS6_17counting_iteratorIiNS6_11use_defaultESG_SG_EENS6_6detail15normal_iteratorINS6_10device_ptrIfEEEES8_S8_S8_S8_S8_S8_S8_S8_EEEE15transform_tupleIifEEEPS9_S9_12reduce_tupleIifEEE10hipError_tPvRmT1_T2_T3_mT4_P12ihipStream_tbEUlT_E0_NS1_11comp_targetILNS1_3genE8ELNS1_11target_archE1030ELNS1_3gpuE2ELNS1_3repE0EEENS1_30default_config_static_selectorELNS0_4arch9wavefront6targetE0EEEvSY_.has_indirect_call, 0
	.section	.AMDGPU.csdata,"",@progbits
; Kernel info:
; codeLenInByte = 4128
; TotalNumSgprs: 26
; NumVgprs: 13
; ScratchSize: 0
; MemoryBound: 0
; FloatMode: 240
; IeeeMode: 1
; LDSByteSize: 192 bytes/workgroup (compile time only)
; SGPRBlocks: 0
; VGPRBlocks: 1
; NumSGPRsForWavesPerEU: 26
; NumVGPRsForWavesPerEU: 13
; Occupancy: 16
; WaveLimiterHint : 1
; COMPUTE_PGM_RSRC2:SCRATCH_EN: 0
; COMPUTE_PGM_RSRC2:USER_SGPR: 6
; COMPUTE_PGM_RSRC2:TRAP_HANDLER: 0
; COMPUTE_PGM_RSRC2:TGID_X_EN: 1
; COMPUTE_PGM_RSRC2:TGID_Y_EN: 0
; COMPUTE_PGM_RSRC2:TGID_Z_EN: 0
; COMPUTE_PGM_RSRC2:TIDIG_COMP_CNT: 0
	.section	.text._ZN7rocprim17ROCPRIM_400000_NS6detail17trampoline_kernelINS0_14default_configENS1_22reduce_config_selectorIN6thrust23THRUST_200600_302600_NS5tupleIbffNS6_9null_typeES8_S8_S8_S8_S8_S8_EEEEZNS1_11reduce_implILb1ES3_NS6_11hip_rocprim26transform_input_iterator_tIS9_NS6_12zip_iteratorINS7_INS6_17counting_iteratorIiNS6_11use_defaultESG_SG_EENS6_6detail15normal_iteratorINS6_10device_ptrIfEEEES8_S8_S8_S8_S8_S8_S8_S8_EEEE15transform_tupleIifEEEPS9_S9_12reduce_tupleIifEEE10hipError_tPvRmT1_T2_T3_mT4_P12ihipStream_tbEUlT_E1_NS1_11comp_targetILNS1_3genE0ELNS1_11target_archE4294967295ELNS1_3gpuE0ELNS1_3repE0EEENS1_30default_config_static_selectorELNS0_4arch9wavefront6targetE0EEEvSY_,"axG",@progbits,_ZN7rocprim17ROCPRIM_400000_NS6detail17trampoline_kernelINS0_14default_configENS1_22reduce_config_selectorIN6thrust23THRUST_200600_302600_NS5tupleIbffNS6_9null_typeES8_S8_S8_S8_S8_S8_EEEEZNS1_11reduce_implILb1ES3_NS6_11hip_rocprim26transform_input_iterator_tIS9_NS6_12zip_iteratorINS7_INS6_17counting_iteratorIiNS6_11use_defaultESG_SG_EENS6_6detail15normal_iteratorINS6_10device_ptrIfEEEES8_S8_S8_S8_S8_S8_S8_S8_EEEE15transform_tupleIifEEEPS9_S9_12reduce_tupleIifEEE10hipError_tPvRmT1_T2_T3_mT4_P12ihipStream_tbEUlT_E1_NS1_11comp_targetILNS1_3genE0ELNS1_11target_archE4294967295ELNS1_3gpuE0ELNS1_3repE0EEENS1_30default_config_static_selectorELNS0_4arch9wavefront6targetE0EEEvSY_,comdat
	.protected	_ZN7rocprim17ROCPRIM_400000_NS6detail17trampoline_kernelINS0_14default_configENS1_22reduce_config_selectorIN6thrust23THRUST_200600_302600_NS5tupleIbffNS6_9null_typeES8_S8_S8_S8_S8_S8_EEEEZNS1_11reduce_implILb1ES3_NS6_11hip_rocprim26transform_input_iterator_tIS9_NS6_12zip_iteratorINS7_INS6_17counting_iteratorIiNS6_11use_defaultESG_SG_EENS6_6detail15normal_iteratorINS6_10device_ptrIfEEEES8_S8_S8_S8_S8_S8_S8_S8_EEEE15transform_tupleIifEEEPS9_S9_12reduce_tupleIifEEE10hipError_tPvRmT1_T2_T3_mT4_P12ihipStream_tbEUlT_E1_NS1_11comp_targetILNS1_3genE0ELNS1_11target_archE4294967295ELNS1_3gpuE0ELNS1_3repE0EEENS1_30default_config_static_selectorELNS0_4arch9wavefront6targetE0EEEvSY_ ; -- Begin function _ZN7rocprim17ROCPRIM_400000_NS6detail17trampoline_kernelINS0_14default_configENS1_22reduce_config_selectorIN6thrust23THRUST_200600_302600_NS5tupleIbffNS6_9null_typeES8_S8_S8_S8_S8_S8_EEEEZNS1_11reduce_implILb1ES3_NS6_11hip_rocprim26transform_input_iterator_tIS9_NS6_12zip_iteratorINS7_INS6_17counting_iteratorIiNS6_11use_defaultESG_SG_EENS6_6detail15normal_iteratorINS6_10device_ptrIfEEEES8_S8_S8_S8_S8_S8_S8_S8_EEEE15transform_tupleIifEEEPS9_S9_12reduce_tupleIifEEE10hipError_tPvRmT1_T2_T3_mT4_P12ihipStream_tbEUlT_E1_NS1_11comp_targetILNS1_3genE0ELNS1_11target_archE4294967295ELNS1_3gpuE0ELNS1_3repE0EEENS1_30default_config_static_selectorELNS0_4arch9wavefront6targetE0EEEvSY_
	.globl	_ZN7rocprim17ROCPRIM_400000_NS6detail17trampoline_kernelINS0_14default_configENS1_22reduce_config_selectorIN6thrust23THRUST_200600_302600_NS5tupleIbffNS6_9null_typeES8_S8_S8_S8_S8_S8_EEEEZNS1_11reduce_implILb1ES3_NS6_11hip_rocprim26transform_input_iterator_tIS9_NS6_12zip_iteratorINS7_INS6_17counting_iteratorIiNS6_11use_defaultESG_SG_EENS6_6detail15normal_iteratorINS6_10device_ptrIfEEEES8_S8_S8_S8_S8_S8_S8_S8_EEEE15transform_tupleIifEEEPS9_S9_12reduce_tupleIifEEE10hipError_tPvRmT1_T2_T3_mT4_P12ihipStream_tbEUlT_E1_NS1_11comp_targetILNS1_3genE0ELNS1_11target_archE4294967295ELNS1_3gpuE0ELNS1_3repE0EEENS1_30default_config_static_selectorELNS0_4arch9wavefront6targetE0EEEvSY_
	.p2align	8
	.type	_ZN7rocprim17ROCPRIM_400000_NS6detail17trampoline_kernelINS0_14default_configENS1_22reduce_config_selectorIN6thrust23THRUST_200600_302600_NS5tupleIbffNS6_9null_typeES8_S8_S8_S8_S8_S8_EEEEZNS1_11reduce_implILb1ES3_NS6_11hip_rocprim26transform_input_iterator_tIS9_NS6_12zip_iteratorINS7_INS6_17counting_iteratorIiNS6_11use_defaultESG_SG_EENS6_6detail15normal_iteratorINS6_10device_ptrIfEEEES8_S8_S8_S8_S8_S8_S8_S8_EEEE15transform_tupleIifEEEPS9_S9_12reduce_tupleIifEEE10hipError_tPvRmT1_T2_T3_mT4_P12ihipStream_tbEUlT_E1_NS1_11comp_targetILNS1_3genE0ELNS1_11target_archE4294967295ELNS1_3gpuE0ELNS1_3repE0EEENS1_30default_config_static_selectorELNS0_4arch9wavefront6targetE0EEEvSY_,@function
_ZN7rocprim17ROCPRIM_400000_NS6detail17trampoline_kernelINS0_14default_configENS1_22reduce_config_selectorIN6thrust23THRUST_200600_302600_NS5tupleIbffNS6_9null_typeES8_S8_S8_S8_S8_S8_EEEEZNS1_11reduce_implILb1ES3_NS6_11hip_rocprim26transform_input_iterator_tIS9_NS6_12zip_iteratorINS7_INS6_17counting_iteratorIiNS6_11use_defaultESG_SG_EENS6_6detail15normal_iteratorINS6_10device_ptrIfEEEES8_S8_S8_S8_S8_S8_S8_S8_EEEE15transform_tupleIifEEEPS9_S9_12reduce_tupleIifEEE10hipError_tPvRmT1_T2_T3_mT4_P12ihipStream_tbEUlT_E1_NS1_11comp_targetILNS1_3genE0ELNS1_11target_archE4294967295ELNS1_3gpuE0ELNS1_3repE0EEENS1_30default_config_static_selectorELNS0_4arch9wavefront6targetE0EEEvSY_: ; @_ZN7rocprim17ROCPRIM_400000_NS6detail17trampoline_kernelINS0_14default_configENS1_22reduce_config_selectorIN6thrust23THRUST_200600_302600_NS5tupleIbffNS6_9null_typeES8_S8_S8_S8_S8_S8_EEEEZNS1_11reduce_implILb1ES3_NS6_11hip_rocprim26transform_input_iterator_tIS9_NS6_12zip_iteratorINS7_INS6_17counting_iteratorIiNS6_11use_defaultESG_SG_EENS6_6detail15normal_iteratorINS6_10device_ptrIfEEEES8_S8_S8_S8_S8_S8_S8_S8_EEEE15transform_tupleIifEEEPS9_S9_12reduce_tupleIifEEE10hipError_tPvRmT1_T2_T3_mT4_P12ihipStream_tbEUlT_E1_NS1_11comp_targetILNS1_3genE0ELNS1_11target_archE4294967295ELNS1_3gpuE0ELNS1_3repE0EEENS1_30default_config_static_selectorELNS0_4arch9wavefront6targetE0EEEvSY_
; %bb.0:
	.section	.rodata,"a",@progbits
	.p2align	6, 0x0
	.amdhsa_kernel _ZN7rocprim17ROCPRIM_400000_NS6detail17trampoline_kernelINS0_14default_configENS1_22reduce_config_selectorIN6thrust23THRUST_200600_302600_NS5tupleIbffNS6_9null_typeES8_S8_S8_S8_S8_S8_EEEEZNS1_11reduce_implILb1ES3_NS6_11hip_rocprim26transform_input_iterator_tIS9_NS6_12zip_iteratorINS7_INS6_17counting_iteratorIiNS6_11use_defaultESG_SG_EENS6_6detail15normal_iteratorINS6_10device_ptrIfEEEES8_S8_S8_S8_S8_S8_S8_S8_EEEE15transform_tupleIifEEEPS9_S9_12reduce_tupleIifEEE10hipError_tPvRmT1_T2_T3_mT4_P12ihipStream_tbEUlT_E1_NS1_11comp_targetILNS1_3genE0ELNS1_11target_archE4294967295ELNS1_3gpuE0ELNS1_3repE0EEENS1_30default_config_static_selectorELNS0_4arch9wavefront6targetE0EEEvSY_
		.amdhsa_group_segment_fixed_size 0
		.amdhsa_private_segment_fixed_size 0
		.amdhsa_kernarg_size 64
		.amdhsa_user_sgpr_count 6
		.amdhsa_user_sgpr_private_segment_buffer 1
		.amdhsa_user_sgpr_dispatch_ptr 0
		.amdhsa_user_sgpr_queue_ptr 0
		.amdhsa_user_sgpr_kernarg_segment_ptr 1
		.amdhsa_user_sgpr_dispatch_id 0
		.amdhsa_user_sgpr_flat_scratch_init 0
		.amdhsa_user_sgpr_private_segment_size 0
		.amdhsa_wavefront_size32 1
		.amdhsa_uses_dynamic_stack 0
		.amdhsa_system_sgpr_private_segment_wavefront_offset 0
		.amdhsa_system_sgpr_workgroup_id_x 1
		.amdhsa_system_sgpr_workgroup_id_y 0
		.amdhsa_system_sgpr_workgroup_id_z 0
		.amdhsa_system_sgpr_workgroup_info 0
		.amdhsa_system_vgpr_workitem_id 0
		.amdhsa_next_free_vgpr 1
		.amdhsa_next_free_sgpr 1
		.amdhsa_reserve_vcc 0
		.amdhsa_reserve_flat_scratch 0
		.amdhsa_float_round_mode_32 0
		.amdhsa_float_round_mode_16_64 0
		.amdhsa_float_denorm_mode_32 3
		.amdhsa_float_denorm_mode_16_64 3
		.amdhsa_dx10_clamp 1
		.amdhsa_ieee_mode 1
		.amdhsa_fp16_overflow 0
		.amdhsa_workgroup_processor_mode 1
		.amdhsa_memory_ordered 1
		.amdhsa_forward_progress 1
		.amdhsa_shared_vgpr_count 0
		.amdhsa_exception_fp_ieee_invalid_op 0
		.amdhsa_exception_fp_denorm_src 0
		.amdhsa_exception_fp_ieee_div_zero 0
		.amdhsa_exception_fp_ieee_overflow 0
		.amdhsa_exception_fp_ieee_underflow 0
		.amdhsa_exception_fp_ieee_inexact 0
		.amdhsa_exception_int_div_zero 0
	.end_amdhsa_kernel
	.section	.text._ZN7rocprim17ROCPRIM_400000_NS6detail17trampoline_kernelINS0_14default_configENS1_22reduce_config_selectorIN6thrust23THRUST_200600_302600_NS5tupleIbffNS6_9null_typeES8_S8_S8_S8_S8_S8_EEEEZNS1_11reduce_implILb1ES3_NS6_11hip_rocprim26transform_input_iterator_tIS9_NS6_12zip_iteratorINS7_INS6_17counting_iteratorIiNS6_11use_defaultESG_SG_EENS6_6detail15normal_iteratorINS6_10device_ptrIfEEEES8_S8_S8_S8_S8_S8_S8_S8_EEEE15transform_tupleIifEEEPS9_S9_12reduce_tupleIifEEE10hipError_tPvRmT1_T2_T3_mT4_P12ihipStream_tbEUlT_E1_NS1_11comp_targetILNS1_3genE0ELNS1_11target_archE4294967295ELNS1_3gpuE0ELNS1_3repE0EEENS1_30default_config_static_selectorELNS0_4arch9wavefront6targetE0EEEvSY_,"axG",@progbits,_ZN7rocprim17ROCPRIM_400000_NS6detail17trampoline_kernelINS0_14default_configENS1_22reduce_config_selectorIN6thrust23THRUST_200600_302600_NS5tupleIbffNS6_9null_typeES8_S8_S8_S8_S8_S8_EEEEZNS1_11reduce_implILb1ES3_NS6_11hip_rocprim26transform_input_iterator_tIS9_NS6_12zip_iteratorINS7_INS6_17counting_iteratorIiNS6_11use_defaultESG_SG_EENS6_6detail15normal_iteratorINS6_10device_ptrIfEEEES8_S8_S8_S8_S8_S8_S8_S8_EEEE15transform_tupleIifEEEPS9_S9_12reduce_tupleIifEEE10hipError_tPvRmT1_T2_T3_mT4_P12ihipStream_tbEUlT_E1_NS1_11comp_targetILNS1_3genE0ELNS1_11target_archE4294967295ELNS1_3gpuE0ELNS1_3repE0EEENS1_30default_config_static_selectorELNS0_4arch9wavefront6targetE0EEEvSY_,comdat
.Lfunc_end28:
	.size	_ZN7rocprim17ROCPRIM_400000_NS6detail17trampoline_kernelINS0_14default_configENS1_22reduce_config_selectorIN6thrust23THRUST_200600_302600_NS5tupleIbffNS6_9null_typeES8_S8_S8_S8_S8_S8_EEEEZNS1_11reduce_implILb1ES3_NS6_11hip_rocprim26transform_input_iterator_tIS9_NS6_12zip_iteratorINS7_INS6_17counting_iteratorIiNS6_11use_defaultESG_SG_EENS6_6detail15normal_iteratorINS6_10device_ptrIfEEEES8_S8_S8_S8_S8_S8_S8_S8_EEEE15transform_tupleIifEEEPS9_S9_12reduce_tupleIifEEE10hipError_tPvRmT1_T2_T3_mT4_P12ihipStream_tbEUlT_E1_NS1_11comp_targetILNS1_3genE0ELNS1_11target_archE4294967295ELNS1_3gpuE0ELNS1_3repE0EEENS1_30default_config_static_selectorELNS0_4arch9wavefront6targetE0EEEvSY_, .Lfunc_end28-_ZN7rocprim17ROCPRIM_400000_NS6detail17trampoline_kernelINS0_14default_configENS1_22reduce_config_selectorIN6thrust23THRUST_200600_302600_NS5tupleIbffNS6_9null_typeES8_S8_S8_S8_S8_S8_EEEEZNS1_11reduce_implILb1ES3_NS6_11hip_rocprim26transform_input_iterator_tIS9_NS6_12zip_iteratorINS7_INS6_17counting_iteratorIiNS6_11use_defaultESG_SG_EENS6_6detail15normal_iteratorINS6_10device_ptrIfEEEES8_S8_S8_S8_S8_S8_S8_S8_EEEE15transform_tupleIifEEEPS9_S9_12reduce_tupleIifEEE10hipError_tPvRmT1_T2_T3_mT4_P12ihipStream_tbEUlT_E1_NS1_11comp_targetILNS1_3genE0ELNS1_11target_archE4294967295ELNS1_3gpuE0ELNS1_3repE0EEENS1_30default_config_static_selectorELNS0_4arch9wavefront6targetE0EEEvSY_
                                        ; -- End function
	.set _ZN7rocprim17ROCPRIM_400000_NS6detail17trampoline_kernelINS0_14default_configENS1_22reduce_config_selectorIN6thrust23THRUST_200600_302600_NS5tupleIbffNS6_9null_typeES8_S8_S8_S8_S8_S8_EEEEZNS1_11reduce_implILb1ES3_NS6_11hip_rocprim26transform_input_iterator_tIS9_NS6_12zip_iteratorINS7_INS6_17counting_iteratorIiNS6_11use_defaultESG_SG_EENS6_6detail15normal_iteratorINS6_10device_ptrIfEEEES8_S8_S8_S8_S8_S8_S8_S8_EEEE15transform_tupleIifEEEPS9_S9_12reduce_tupleIifEEE10hipError_tPvRmT1_T2_T3_mT4_P12ihipStream_tbEUlT_E1_NS1_11comp_targetILNS1_3genE0ELNS1_11target_archE4294967295ELNS1_3gpuE0ELNS1_3repE0EEENS1_30default_config_static_selectorELNS0_4arch9wavefront6targetE0EEEvSY_.num_vgpr, 0
	.set _ZN7rocprim17ROCPRIM_400000_NS6detail17trampoline_kernelINS0_14default_configENS1_22reduce_config_selectorIN6thrust23THRUST_200600_302600_NS5tupleIbffNS6_9null_typeES8_S8_S8_S8_S8_S8_EEEEZNS1_11reduce_implILb1ES3_NS6_11hip_rocprim26transform_input_iterator_tIS9_NS6_12zip_iteratorINS7_INS6_17counting_iteratorIiNS6_11use_defaultESG_SG_EENS6_6detail15normal_iteratorINS6_10device_ptrIfEEEES8_S8_S8_S8_S8_S8_S8_S8_EEEE15transform_tupleIifEEEPS9_S9_12reduce_tupleIifEEE10hipError_tPvRmT1_T2_T3_mT4_P12ihipStream_tbEUlT_E1_NS1_11comp_targetILNS1_3genE0ELNS1_11target_archE4294967295ELNS1_3gpuE0ELNS1_3repE0EEENS1_30default_config_static_selectorELNS0_4arch9wavefront6targetE0EEEvSY_.num_agpr, 0
	.set _ZN7rocprim17ROCPRIM_400000_NS6detail17trampoline_kernelINS0_14default_configENS1_22reduce_config_selectorIN6thrust23THRUST_200600_302600_NS5tupleIbffNS6_9null_typeES8_S8_S8_S8_S8_S8_EEEEZNS1_11reduce_implILb1ES3_NS6_11hip_rocprim26transform_input_iterator_tIS9_NS6_12zip_iteratorINS7_INS6_17counting_iteratorIiNS6_11use_defaultESG_SG_EENS6_6detail15normal_iteratorINS6_10device_ptrIfEEEES8_S8_S8_S8_S8_S8_S8_S8_EEEE15transform_tupleIifEEEPS9_S9_12reduce_tupleIifEEE10hipError_tPvRmT1_T2_T3_mT4_P12ihipStream_tbEUlT_E1_NS1_11comp_targetILNS1_3genE0ELNS1_11target_archE4294967295ELNS1_3gpuE0ELNS1_3repE0EEENS1_30default_config_static_selectorELNS0_4arch9wavefront6targetE0EEEvSY_.numbered_sgpr, 0
	.set _ZN7rocprim17ROCPRIM_400000_NS6detail17trampoline_kernelINS0_14default_configENS1_22reduce_config_selectorIN6thrust23THRUST_200600_302600_NS5tupleIbffNS6_9null_typeES8_S8_S8_S8_S8_S8_EEEEZNS1_11reduce_implILb1ES3_NS6_11hip_rocprim26transform_input_iterator_tIS9_NS6_12zip_iteratorINS7_INS6_17counting_iteratorIiNS6_11use_defaultESG_SG_EENS6_6detail15normal_iteratorINS6_10device_ptrIfEEEES8_S8_S8_S8_S8_S8_S8_S8_EEEE15transform_tupleIifEEEPS9_S9_12reduce_tupleIifEEE10hipError_tPvRmT1_T2_T3_mT4_P12ihipStream_tbEUlT_E1_NS1_11comp_targetILNS1_3genE0ELNS1_11target_archE4294967295ELNS1_3gpuE0ELNS1_3repE0EEENS1_30default_config_static_selectorELNS0_4arch9wavefront6targetE0EEEvSY_.num_named_barrier, 0
	.set _ZN7rocprim17ROCPRIM_400000_NS6detail17trampoline_kernelINS0_14default_configENS1_22reduce_config_selectorIN6thrust23THRUST_200600_302600_NS5tupleIbffNS6_9null_typeES8_S8_S8_S8_S8_S8_EEEEZNS1_11reduce_implILb1ES3_NS6_11hip_rocprim26transform_input_iterator_tIS9_NS6_12zip_iteratorINS7_INS6_17counting_iteratorIiNS6_11use_defaultESG_SG_EENS6_6detail15normal_iteratorINS6_10device_ptrIfEEEES8_S8_S8_S8_S8_S8_S8_S8_EEEE15transform_tupleIifEEEPS9_S9_12reduce_tupleIifEEE10hipError_tPvRmT1_T2_T3_mT4_P12ihipStream_tbEUlT_E1_NS1_11comp_targetILNS1_3genE0ELNS1_11target_archE4294967295ELNS1_3gpuE0ELNS1_3repE0EEENS1_30default_config_static_selectorELNS0_4arch9wavefront6targetE0EEEvSY_.private_seg_size, 0
	.set _ZN7rocprim17ROCPRIM_400000_NS6detail17trampoline_kernelINS0_14default_configENS1_22reduce_config_selectorIN6thrust23THRUST_200600_302600_NS5tupleIbffNS6_9null_typeES8_S8_S8_S8_S8_S8_EEEEZNS1_11reduce_implILb1ES3_NS6_11hip_rocprim26transform_input_iterator_tIS9_NS6_12zip_iteratorINS7_INS6_17counting_iteratorIiNS6_11use_defaultESG_SG_EENS6_6detail15normal_iteratorINS6_10device_ptrIfEEEES8_S8_S8_S8_S8_S8_S8_S8_EEEE15transform_tupleIifEEEPS9_S9_12reduce_tupleIifEEE10hipError_tPvRmT1_T2_T3_mT4_P12ihipStream_tbEUlT_E1_NS1_11comp_targetILNS1_3genE0ELNS1_11target_archE4294967295ELNS1_3gpuE0ELNS1_3repE0EEENS1_30default_config_static_selectorELNS0_4arch9wavefront6targetE0EEEvSY_.uses_vcc, 0
	.set _ZN7rocprim17ROCPRIM_400000_NS6detail17trampoline_kernelINS0_14default_configENS1_22reduce_config_selectorIN6thrust23THRUST_200600_302600_NS5tupleIbffNS6_9null_typeES8_S8_S8_S8_S8_S8_EEEEZNS1_11reduce_implILb1ES3_NS6_11hip_rocprim26transform_input_iterator_tIS9_NS6_12zip_iteratorINS7_INS6_17counting_iteratorIiNS6_11use_defaultESG_SG_EENS6_6detail15normal_iteratorINS6_10device_ptrIfEEEES8_S8_S8_S8_S8_S8_S8_S8_EEEE15transform_tupleIifEEEPS9_S9_12reduce_tupleIifEEE10hipError_tPvRmT1_T2_T3_mT4_P12ihipStream_tbEUlT_E1_NS1_11comp_targetILNS1_3genE0ELNS1_11target_archE4294967295ELNS1_3gpuE0ELNS1_3repE0EEENS1_30default_config_static_selectorELNS0_4arch9wavefront6targetE0EEEvSY_.uses_flat_scratch, 0
	.set _ZN7rocprim17ROCPRIM_400000_NS6detail17trampoline_kernelINS0_14default_configENS1_22reduce_config_selectorIN6thrust23THRUST_200600_302600_NS5tupleIbffNS6_9null_typeES8_S8_S8_S8_S8_S8_EEEEZNS1_11reduce_implILb1ES3_NS6_11hip_rocprim26transform_input_iterator_tIS9_NS6_12zip_iteratorINS7_INS6_17counting_iteratorIiNS6_11use_defaultESG_SG_EENS6_6detail15normal_iteratorINS6_10device_ptrIfEEEES8_S8_S8_S8_S8_S8_S8_S8_EEEE15transform_tupleIifEEEPS9_S9_12reduce_tupleIifEEE10hipError_tPvRmT1_T2_T3_mT4_P12ihipStream_tbEUlT_E1_NS1_11comp_targetILNS1_3genE0ELNS1_11target_archE4294967295ELNS1_3gpuE0ELNS1_3repE0EEENS1_30default_config_static_selectorELNS0_4arch9wavefront6targetE0EEEvSY_.has_dyn_sized_stack, 0
	.set _ZN7rocprim17ROCPRIM_400000_NS6detail17trampoline_kernelINS0_14default_configENS1_22reduce_config_selectorIN6thrust23THRUST_200600_302600_NS5tupleIbffNS6_9null_typeES8_S8_S8_S8_S8_S8_EEEEZNS1_11reduce_implILb1ES3_NS6_11hip_rocprim26transform_input_iterator_tIS9_NS6_12zip_iteratorINS7_INS6_17counting_iteratorIiNS6_11use_defaultESG_SG_EENS6_6detail15normal_iteratorINS6_10device_ptrIfEEEES8_S8_S8_S8_S8_S8_S8_S8_EEEE15transform_tupleIifEEEPS9_S9_12reduce_tupleIifEEE10hipError_tPvRmT1_T2_T3_mT4_P12ihipStream_tbEUlT_E1_NS1_11comp_targetILNS1_3genE0ELNS1_11target_archE4294967295ELNS1_3gpuE0ELNS1_3repE0EEENS1_30default_config_static_selectorELNS0_4arch9wavefront6targetE0EEEvSY_.has_recursion, 0
	.set _ZN7rocprim17ROCPRIM_400000_NS6detail17trampoline_kernelINS0_14default_configENS1_22reduce_config_selectorIN6thrust23THRUST_200600_302600_NS5tupleIbffNS6_9null_typeES8_S8_S8_S8_S8_S8_EEEEZNS1_11reduce_implILb1ES3_NS6_11hip_rocprim26transform_input_iterator_tIS9_NS6_12zip_iteratorINS7_INS6_17counting_iteratorIiNS6_11use_defaultESG_SG_EENS6_6detail15normal_iteratorINS6_10device_ptrIfEEEES8_S8_S8_S8_S8_S8_S8_S8_EEEE15transform_tupleIifEEEPS9_S9_12reduce_tupleIifEEE10hipError_tPvRmT1_T2_T3_mT4_P12ihipStream_tbEUlT_E1_NS1_11comp_targetILNS1_3genE0ELNS1_11target_archE4294967295ELNS1_3gpuE0ELNS1_3repE0EEENS1_30default_config_static_selectorELNS0_4arch9wavefront6targetE0EEEvSY_.has_indirect_call, 0
	.section	.AMDGPU.csdata,"",@progbits
; Kernel info:
; codeLenInByte = 0
; TotalNumSgprs: 0
; NumVgprs: 0
; ScratchSize: 0
; MemoryBound: 0
; FloatMode: 240
; IeeeMode: 1
; LDSByteSize: 0 bytes/workgroup (compile time only)
; SGPRBlocks: 0
; VGPRBlocks: 0
; NumSGPRsForWavesPerEU: 1
; NumVGPRsForWavesPerEU: 1
; Occupancy: 16
; WaveLimiterHint : 0
; COMPUTE_PGM_RSRC2:SCRATCH_EN: 0
; COMPUTE_PGM_RSRC2:USER_SGPR: 6
; COMPUTE_PGM_RSRC2:TRAP_HANDLER: 0
; COMPUTE_PGM_RSRC2:TGID_X_EN: 1
; COMPUTE_PGM_RSRC2:TGID_Y_EN: 0
; COMPUTE_PGM_RSRC2:TGID_Z_EN: 0
; COMPUTE_PGM_RSRC2:TIDIG_COMP_CNT: 0
	.section	.text._ZN7rocprim17ROCPRIM_400000_NS6detail17trampoline_kernelINS0_14default_configENS1_22reduce_config_selectorIN6thrust23THRUST_200600_302600_NS5tupleIbffNS6_9null_typeES8_S8_S8_S8_S8_S8_EEEEZNS1_11reduce_implILb1ES3_NS6_11hip_rocprim26transform_input_iterator_tIS9_NS6_12zip_iteratorINS7_INS6_17counting_iteratorIiNS6_11use_defaultESG_SG_EENS6_6detail15normal_iteratorINS6_10device_ptrIfEEEES8_S8_S8_S8_S8_S8_S8_S8_EEEE15transform_tupleIifEEEPS9_S9_12reduce_tupleIifEEE10hipError_tPvRmT1_T2_T3_mT4_P12ihipStream_tbEUlT_E1_NS1_11comp_targetILNS1_3genE5ELNS1_11target_archE942ELNS1_3gpuE9ELNS1_3repE0EEENS1_30default_config_static_selectorELNS0_4arch9wavefront6targetE0EEEvSY_,"axG",@progbits,_ZN7rocprim17ROCPRIM_400000_NS6detail17trampoline_kernelINS0_14default_configENS1_22reduce_config_selectorIN6thrust23THRUST_200600_302600_NS5tupleIbffNS6_9null_typeES8_S8_S8_S8_S8_S8_EEEEZNS1_11reduce_implILb1ES3_NS6_11hip_rocprim26transform_input_iterator_tIS9_NS6_12zip_iteratorINS7_INS6_17counting_iteratorIiNS6_11use_defaultESG_SG_EENS6_6detail15normal_iteratorINS6_10device_ptrIfEEEES8_S8_S8_S8_S8_S8_S8_S8_EEEE15transform_tupleIifEEEPS9_S9_12reduce_tupleIifEEE10hipError_tPvRmT1_T2_T3_mT4_P12ihipStream_tbEUlT_E1_NS1_11comp_targetILNS1_3genE5ELNS1_11target_archE942ELNS1_3gpuE9ELNS1_3repE0EEENS1_30default_config_static_selectorELNS0_4arch9wavefront6targetE0EEEvSY_,comdat
	.protected	_ZN7rocprim17ROCPRIM_400000_NS6detail17trampoline_kernelINS0_14default_configENS1_22reduce_config_selectorIN6thrust23THRUST_200600_302600_NS5tupleIbffNS6_9null_typeES8_S8_S8_S8_S8_S8_EEEEZNS1_11reduce_implILb1ES3_NS6_11hip_rocprim26transform_input_iterator_tIS9_NS6_12zip_iteratorINS7_INS6_17counting_iteratorIiNS6_11use_defaultESG_SG_EENS6_6detail15normal_iteratorINS6_10device_ptrIfEEEES8_S8_S8_S8_S8_S8_S8_S8_EEEE15transform_tupleIifEEEPS9_S9_12reduce_tupleIifEEE10hipError_tPvRmT1_T2_T3_mT4_P12ihipStream_tbEUlT_E1_NS1_11comp_targetILNS1_3genE5ELNS1_11target_archE942ELNS1_3gpuE9ELNS1_3repE0EEENS1_30default_config_static_selectorELNS0_4arch9wavefront6targetE0EEEvSY_ ; -- Begin function _ZN7rocprim17ROCPRIM_400000_NS6detail17trampoline_kernelINS0_14default_configENS1_22reduce_config_selectorIN6thrust23THRUST_200600_302600_NS5tupleIbffNS6_9null_typeES8_S8_S8_S8_S8_S8_EEEEZNS1_11reduce_implILb1ES3_NS6_11hip_rocprim26transform_input_iterator_tIS9_NS6_12zip_iteratorINS7_INS6_17counting_iteratorIiNS6_11use_defaultESG_SG_EENS6_6detail15normal_iteratorINS6_10device_ptrIfEEEES8_S8_S8_S8_S8_S8_S8_S8_EEEE15transform_tupleIifEEEPS9_S9_12reduce_tupleIifEEE10hipError_tPvRmT1_T2_T3_mT4_P12ihipStream_tbEUlT_E1_NS1_11comp_targetILNS1_3genE5ELNS1_11target_archE942ELNS1_3gpuE9ELNS1_3repE0EEENS1_30default_config_static_selectorELNS0_4arch9wavefront6targetE0EEEvSY_
	.globl	_ZN7rocprim17ROCPRIM_400000_NS6detail17trampoline_kernelINS0_14default_configENS1_22reduce_config_selectorIN6thrust23THRUST_200600_302600_NS5tupleIbffNS6_9null_typeES8_S8_S8_S8_S8_S8_EEEEZNS1_11reduce_implILb1ES3_NS6_11hip_rocprim26transform_input_iterator_tIS9_NS6_12zip_iteratorINS7_INS6_17counting_iteratorIiNS6_11use_defaultESG_SG_EENS6_6detail15normal_iteratorINS6_10device_ptrIfEEEES8_S8_S8_S8_S8_S8_S8_S8_EEEE15transform_tupleIifEEEPS9_S9_12reduce_tupleIifEEE10hipError_tPvRmT1_T2_T3_mT4_P12ihipStream_tbEUlT_E1_NS1_11comp_targetILNS1_3genE5ELNS1_11target_archE942ELNS1_3gpuE9ELNS1_3repE0EEENS1_30default_config_static_selectorELNS0_4arch9wavefront6targetE0EEEvSY_
	.p2align	8
	.type	_ZN7rocprim17ROCPRIM_400000_NS6detail17trampoline_kernelINS0_14default_configENS1_22reduce_config_selectorIN6thrust23THRUST_200600_302600_NS5tupleIbffNS6_9null_typeES8_S8_S8_S8_S8_S8_EEEEZNS1_11reduce_implILb1ES3_NS6_11hip_rocprim26transform_input_iterator_tIS9_NS6_12zip_iteratorINS7_INS6_17counting_iteratorIiNS6_11use_defaultESG_SG_EENS6_6detail15normal_iteratorINS6_10device_ptrIfEEEES8_S8_S8_S8_S8_S8_S8_S8_EEEE15transform_tupleIifEEEPS9_S9_12reduce_tupleIifEEE10hipError_tPvRmT1_T2_T3_mT4_P12ihipStream_tbEUlT_E1_NS1_11comp_targetILNS1_3genE5ELNS1_11target_archE942ELNS1_3gpuE9ELNS1_3repE0EEENS1_30default_config_static_selectorELNS0_4arch9wavefront6targetE0EEEvSY_,@function
_ZN7rocprim17ROCPRIM_400000_NS6detail17trampoline_kernelINS0_14default_configENS1_22reduce_config_selectorIN6thrust23THRUST_200600_302600_NS5tupleIbffNS6_9null_typeES8_S8_S8_S8_S8_S8_EEEEZNS1_11reduce_implILb1ES3_NS6_11hip_rocprim26transform_input_iterator_tIS9_NS6_12zip_iteratorINS7_INS6_17counting_iteratorIiNS6_11use_defaultESG_SG_EENS6_6detail15normal_iteratorINS6_10device_ptrIfEEEES8_S8_S8_S8_S8_S8_S8_S8_EEEE15transform_tupleIifEEEPS9_S9_12reduce_tupleIifEEE10hipError_tPvRmT1_T2_T3_mT4_P12ihipStream_tbEUlT_E1_NS1_11comp_targetILNS1_3genE5ELNS1_11target_archE942ELNS1_3gpuE9ELNS1_3repE0EEENS1_30default_config_static_selectorELNS0_4arch9wavefront6targetE0EEEvSY_: ; @_ZN7rocprim17ROCPRIM_400000_NS6detail17trampoline_kernelINS0_14default_configENS1_22reduce_config_selectorIN6thrust23THRUST_200600_302600_NS5tupleIbffNS6_9null_typeES8_S8_S8_S8_S8_S8_EEEEZNS1_11reduce_implILb1ES3_NS6_11hip_rocprim26transform_input_iterator_tIS9_NS6_12zip_iteratorINS7_INS6_17counting_iteratorIiNS6_11use_defaultESG_SG_EENS6_6detail15normal_iteratorINS6_10device_ptrIfEEEES8_S8_S8_S8_S8_S8_S8_S8_EEEE15transform_tupleIifEEEPS9_S9_12reduce_tupleIifEEE10hipError_tPvRmT1_T2_T3_mT4_P12ihipStream_tbEUlT_E1_NS1_11comp_targetILNS1_3genE5ELNS1_11target_archE942ELNS1_3gpuE9ELNS1_3repE0EEENS1_30default_config_static_selectorELNS0_4arch9wavefront6targetE0EEEvSY_
; %bb.0:
	.section	.rodata,"a",@progbits
	.p2align	6, 0x0
	.amdhsa_kernel _ZN7rocprim17ROCPRIM_400000_NS6detail17trampoline_kernelINS0_14default_configENS1_22reduce_config_selectorIN6thrust23THRUST_200600_302600_NS5tupleIbffNS6_9null_typeES8_S8_S8_S8_S8_S8_EEEEZNS1_11reduce_implILb1ES3_NS6_11hip_rocprim26transform_input_iterator_tIS9_NS6_12zip_iteratorINS7_INS6_17counting_iteratorIiNS6_11use_defaultESG_SG_EENS6_6detail15normal_iteratorINS6_10device_ptrIfEEEES8_S8_S8_S8_S8_S8_S8_S8_EEEE15transform_tupleIifEEEPS9_S9_12reduce_tupleIifEEE10hipError_tPvRmT1_T2_T3_mT4_P12ihipStream_tbEUlT_E1_NS1_11comp_targetILNS1_3genE5ELNS1_11target_archE942ELNS1_3gpuE9ELNS1_3repE0EEENS1_30default_config_static_selectorELNS0_4arch9wavefront6targetE0EEEvSY_
		.amdhsa_group_segment_fixed_size 0
		.amdhsa_private_segment_fixed_size 0
		.amdhsa_kernarg_size 64
		.amdhsa_user_sgpr_count 6
		.amdhsa_user_sgpr_private_segment_buffer 1
		.amdhsa_user_sgpr_dispatch_ptr 0
		.amdhsa_user_sgpr_queue_ptr 0
		.amdhsa_user_sgpr_kernarg_segment_ptr 1
		.amdhsa_user_sgpr_dispatch_id 0
		.amdhsa_user_sgpr_flat_scratch_init 0
		.amdhsa_user_sgpr_private_segment_size 0
		.amdhsa_wavefront_size32 1
		.amdhsa_uses_dynamic_stack 0
		.amdhsa_system_sgpr_private_segment_wavefront_offset 0
		.amdhsa_system_sgpr_workgroup_id_x 1
		.amdhsa_system_sgpr_workgroup_id_y 0
		.amdhsa_system_sgpr_workgroup_id_z 0
		.amdhsa_system_sgpr_workgroup_info 0
		.amdhsa_system_vgpr_workitem_id 0
		.amdhsa_next_free_vgpr 1
		.amdhsa_next_free_sgpr 1
		.amdhsa_reserve_vcc 0
		.amdhsa_reserve_flat_scratch 0
		.amdhsa_float_round_mode_32 0
		.amdhsa_float_round_mode_16_64 0
		.amdhsa_float_denorm_mode_32 3
		.amdhsa_float_denorm_mode_16_64 3
		.amdhsa_dx10_clamp 1
		.amdhsa_ieee_mode 1
		.amdhsa_fp16_overflow 0
		.amdhsa_workgroup_processor_mode 1
		.amdhsa_memory_ordered 1
		.amdhsa_forward_progress 1
		.amdhsa_shared_vgpr_count 0
		.amdhsa_exception_fp_ieee_invalid_op 0
		.amdhsa_exception_fp_denorm_src 0
		.amdhsa_exception_fp_ieee_div_zero 0
		.amdhsa_exception_fp_ieee_overflow 0
		.amdhsa_exception_fp_ieee_underflow 0
		.amdhsa_exception_fp_ieee_inexact 0
		.amdhsa_exception_int_div_zero 0
	.end_amdhsa_kernel
	.section	.text._ZN7rocprim17ROCPRIM_400000_NS6detail17trampoline_kernelINS0_14default_configENS1_22reduce_config_selectorIN6thrust23THRUST_200600_302600_NS5tupleIbffNS6_9null_typeES8_S8_S8_S8_S8_S8_EEEEZNS1_11reduce_implILb1ES3_NS6_11hip_rocprim26transform_input_iterator_tIS9_NS6_12zip_iteratorINS7_INS6_17counting_iteratorIiNS6_11use_defaultESG_SG_EENS6_6detail15normal_iteratorINS6_10device_ptrIfEEEES8_S8_S8_S8_S8_S8_S8_S8_EEEE15transform_tupleIifEEEPS9_S9_12reduce_tupleIifEEE10hipError_tPvRmT1_T2_T3_mT4_P12ihipStream_tbEUlT_E1_NS1_11comp_targetILNS1_3genE5ELNS1_11target_archE942ELNS1_3gpuE9ELNS1_3repE0EEENS1_30default_config_static_selectorELNS0_4arch9wavefront6targetE0EEEvSY_,"axG",@progbits,_ZN7rocprim17ROCPRIM_400000_NS6detail17trampoline_kernelINS0_14default_configENS1_22reduce_config_selectorIN6thrust23THRUST_200600_302600_NS5tupleIbffNS6_9null_typeES8_S8_S8_S8_S8_S8_EEEEZNS1_11reduce_implILb1ES3_NS6_11hip_rocprim26transform_input_iterator_tIS9_NS6_12zip_iteratorINS7_INS6_17counting_iteratorIiNS6_11use_defaultESG_SG_EENS6_6detail15normal_iteratorINS6_10device_ptrIfEEEES8_S8_S8_S8_S8_S8_S8_S8_EEEE15transform_tupleIifEEEPS9_S9_12reduce_tupleIifEEE10hipError_tPvRmT1_T2_T3_mT4_P12ihipStream_tbEUlT_E1_NS1_11comp_targetILNS1_3genE5ELNS1_11target_archE942ELNS1_3gpuE9ELNS1_3repE0EEENS1_30default_config_static_selectorELNS0_4arch9wavefront6targetE0EEEvSY_,comdat
.Lfunc_end29:
	.size	_ZN7rocprim17ROCPRIM_400000_NS6detail17trampoline_kernelINS0_14default_configENS1_22reduce_config_selectorIN6thrust23THRUST_200600_302600_NS5tupleIbffNS6_9null_typeES8_S8_S8_S8_S8_S8_EEEEZNS1_11reduce_implILb1ES3_NS6_11hip_rocprim26transform_input_iterator_tIS9_NS6_12zip_iteratorINS7_INS6_17counting_iteratorIiNS6_11use_defaultESG_SG_EENS6_6detail15normal_iteratorINS6_10device_ptrIfEEEES8_S8_S8_S8_S8_S8_S8_S8_EEEE15transform_tupleIifEEEPS9_S9_12reduce_tupleIifEEE10hipError_tPvRmT1_T2_T3_mT4_P12ihipStream_tbEUlT_E1_NS1_11comp_targetILNS1_3genE5ELNS1_11target_archE942ELNS1_3gpuE9ELNS1_3repE0EEENS1_30default_config_static_selectorELNS0_4arch9wavefront6targetE0EEEvSY_, .Lfunc_end29-_ZN7rocprim17ROCPRIM_400000_NS6detail17trampoline_kernelINS0_14default_configENS1_22reduce_config_selectorIN6thrust23THRUST_200600_302600_NS5tupleIbffNS6_9null_typeES8_S8_S8_S8_S8_S8_EEEEZNS1_11reduce_implILb1ES3_NS6_11hip_rocprim26transform_input_iterator_tIS9_NS6_12zip_iteratorINS7_INS6_17counting_iteratorIiNS6_11use_defaultESG_SG_EENS6_6detail15normal_iteratorINS6_10device_ptrIfEEEES8_S8_S8_S8_S8_S8_S8_S8_EEEE15transform_tupleIifEEEPS9_S9_12reduce_tupleIifEEE10hipError_tPvRmT1_T2_T3_mT4_P12ihipStream_tbEUlT_E1_NS1_11comp_targetILNS1_3genE5ELNS1_11target_archE942ELNS1_3gpuE9ELNS1_3repE0EEENS1_30default_config_static_selectorELNS0_4arch9wavefront6targetE0EEEvSY_
                                        ; -- End function
	.set _ZN7rocprim17ROCPRIM_400000_NS6detail17trampoline_kernelINS0_14default_configENS1_22reduce_config_selectorIN6thrust23THRUST_200600_302600_NS5tupleIbffNS6_9null_typeES8_S8_S8_S8_S8_S8_EEEEZNS1_11reduce_implILb1ES3_NS6_11hip_rocprim26transform_input_iterator_tIS9_NS6_12zip_iteratorINS7_INS6_17counting_iteratorIiNS6_11use_defaultESG_SG_EENS6_6detail15normal_iteratorINS6_10device_ptrIfEEEES8_S8_S8_S8_S8_S8_S8_S8_EEEE15transform_tupleIifEEEPS9_S9_12reduce_tupleIifEEE10hipError_tPvRmT1_T2_T3_mT4_P12ihipStream_tbEUlT_E1_NS1_11comp_targetILNS1_3genE5ELNS1_11target_archE942ELNS1_3gpuE9ELNS1_3repE0EEENS1_30default_config_static_selectorELNS0_4arch9wavefront6targetE0EEEvSY_.num_vgpr, 0
	.set _ZN7rocprim17ROCPRIM_400000_NS6detail17trampoline_kernelINS0_14default_configENS1_22reduce_config_selectorIN6thrust23THRUST_200600_302600_NS5tupleIbffNS6_9null_typeES8_S8_S8_S8_S8_S8_EEEEZNS1_11reduce_implILb1ES3_NS6_11hip_rocprim26transform_input_iterator_tIS9_NS6_12zip_iteratorINS7_INS6_17counting_iteratorIiNS6_11use_defaultESG_SG_EENS6_6detail15normal_iteratorINS6_10device_ptrIfEEEES8_S8_S8_S8_S8_S8_S8_S8_EEEE15transform_tupleIifEEEPS9_S9_12reduce_tupleIifEEE10hipError_tPvRmT1_T2_T3_mT4_P12ihipStream_tbEUlT_E1_NS1_11comp_targetILNS1_3genE5ELNS1_11target_archE942ELNS1_3gpuE9ELNS1_3repE0EEENS1_30default_config_static_selectorELNS0_4arch9wavefront6targetE0EEEvSY_.num_agpr, 0
	.set _ZN7rocprim17ROCPRIM_400000_NS6detail17trampoline_kernelINS0_14default_configENS1_22reduce_config_selectorIN6thrust23THRUST_200600_302600_NS5tupleIbffNS6_9null_typeES8_S8_S8_S8_S8_S8_EEEEZNS1_11reduce_implILb1ES3_NS6_11hip_rocprim26transform_input_iterator_tIS9_NS6_12zip_iteratorINS7_INS6_17counting_iteratorIiNS6_11use_defaultESG_SG_EENS6_6detail15normal_iteratorINS6_10device_ptrIfEEEES8_S8_S8_S8_S8_S8_S8_S8_EEEE15transform_tupleIifEEEPS9_S9_12reduce_tupleIifEEE10hipError_tPvRmT1_T2_T3_mT4_P12ihipStream_tbEUlT_E1_NS1_11comp_targetILNS1_3genE5ELNS1_11target_archE942ELNS1_3gpuE9ELNS1_3repE0EEENS1_30default_config_static_selectorELNS0_4arch9wavefront6targetE0EEEvSY_.numbered_sgpr, 0
	.set _ZN7rocprim17ROCPRIM_400000_NS6detail17trampoline_kernelINS0_14default_configENS1_22reduce_config_selectorIN6thrust23THRUST_200600_302600_NS5tupleIbffNS6_9null_typeES8_S8_S8_S8_S8_S8_EEEEZNS1_11reduce_implILb1ES3_NS6_11hip_rocprim26transform_input_iterator_tIS9_NS6_12zip_iteratorINS7_INS6_17counting_iteratorIiNS6_11use_defaultESG_SG_EENS6_6detail15normal_iteratorINS6_10device_ptrIfEEEES8_S8_S8_S8_S8_S8_S8_S8_EEEE15transform_tupleIifEEEPS9_S9_12reduce_tupleIifEEE10hipError_tPvRmT1_T2_T3_mT4_P12ihipStream_tbEUlT_E1_NS1_11comp_targetILNS1_3genE5ELNS1_11target_archE942ELNS1_3gpuE9ELNS1_3repE0EEENS1_30default_config_static_selectorELNS0_4arch9wavefront6targetE0EEEvSY_.num_named_barrier, 0
	.set _ZN7rocprim17ROCPRIM_400000_NS6detail17trampoline_kernelINS0_14default_configENS1_22reduce_config_selectorIN6thrust23THRUST_200600_302600_NS5tupleIbffNS6_9null_typeES8_S8_S8_S8_S8_S8_EEEEZNS1_11reduce_implILb1ES3_NS6_11hip_rocprim26transform_input_iterator_tIS9_NS6_12zip_iteratorINS7_INS6_17counting_iteratorIiNS6_11use_defaultESG_SG_EENS6_6detail15normal_iteratorINS6_10device_ptrIfEEEES8_S8_S8_S8_S8_S8_S8_S8_EEEE15transform_tupleIifEEEPS9_S9_12reduce_tupleIifEEE10hipError_tPvRmT1_T2_T3_mT4_P12ihipStream_tbEUlT_E1_NS1_11comp_targetILNS1_3genE5ELNS1_11target_archE942ELNS1_3gpuE9ELNS1_3repE0EEENS1_30default_config_static_selectorELNS0_4arch9wavefront6targetE0EEEvSY_.private_seg_size, 0
	.set _ZN7rocprim17ROCPRIM_400000_NS6detail17trampoline_kernelINS0_14default_configENS1_22reduce_config_selectorIN6thrust23THRUST_200600_302600_NS5tupleIbffNS6_9null_typeES8_S8_S8_S8_S8_S8_EEEEZNS1_11reduce_implILb1ES3_NS6_11hip_rocprim26transform_input_iterator_tIS9_NS6_12zip_iteratorINS7_INS6_17counting_iteratorIiNS6_11use_defaultESG_SG_EENS6_6detail15normal_iteratorINS6_10device_ptrIfEEEES8_S8_S8_S8_S8_S8_S8_S8_EEEE15transform_tupleIifEEEPS9_S9_12reduce_tupleIifEEE10hipError_tPvRmT1_T2_T3_mT4_P12ihipStream_tbEUlT_E1_NS1_11comp_targetILNS1_3genE5ELNS1_11target_archE942ELNS1_3gpuE9ELNS1_3repE0EEENS1_30default_config_static_selectorELNS0_4arch9wavefront6targetE0EEEvSY_.uses_vcc, 0
	.set _ZN7rocprim17ROCPRIM_400000_NS6detail17trampoline_kernelINS0_14default_configENS1_22reduce_config_selectorIN6thrust23THRUST_200600_302600_NS5tupleIbffNS6_9null_typeES8_S8_S8_S8_S8_S8_EEEEZNS1_11reduce_implILb1ES3_NS6_11hip_rocprim26transform_input_iterator_tIS9_NS6_12zip_iteratorINS7_INS6_17counting_iteratorIiNS6_11use_defaultESG_SG_EENS6_6detail15normal_iteratorINS6_10device_ptrIfEEEES8_S8_S8_S8_S8_S8_S8_S8_EEEE15transform_tupleIifEEEPS9_S9_12reduce_tupleIifEEE10hipError_tPvRmT1_T2_T3_mT4_P12ihipStream_tbEUlT_E1_NS1_11comp_targetILNS1_3genE5ELNS1_11target_archE942ELNS1_3gpuE9ELNS1_3repE0EEENS1_30default_config_static_selectorELNS0_4arch9wavefront6targetE0EEEvSY_.uses_flat_scratch, 0
	.set _ZN7rocprim17ROCPRIM_400000_NS6detail17trampoline_kernelINS0_14default_configENS1_22reduce_config_selectorIN6thrust23THRUST_200600_302600_NS5tupleIbffNS6_9null_typeES8_S8_S8_S8_S8_S8_EEEEZNS1_11reduce_implILb1ES3_NS6_11hip_rocprim26transform_input_iterator_tIS9_NS6_12zip_iteratorINS7_INS6_17counting_iteratorIiNS6_11use_defaultESG_SG_EENS6_6detail15normal_iteratorINS6_10device_ptrIfEEEES8_S8_S8_S8_S8_S8_S8_S8_EEEE15transform_tupleIifEEEPS9_S9_12reduce_tupleIifEEE10hipError_tPvRmT1_T2_T3_mT4_P12ihipStream_tbEUlT_E1_NS1_11comp_targetILNS1_3genE5ELNS1_11target_archE942ELNS1_3gpuE9ELNS1_3repE0EEENS1_30default_config_static_selectorELNS0_4arch9wavefront6targetE0EEEvSY_.has_dyn_sized_stack, 0
	.set _ZN7rocprim17ROCPRIM_400000_NS6detail17trampoline_kernelINS0_14default_configENS1_22reduce_config_selectorIN6thrust23THRUST_200600_302600_NS5tupleIbffNS6_9null_typeES8_S8_S8_S8_S8_S8_EEEEZNS1_11reduce_implILb1ES3_NS6_11hip_rocprim26transform_input_iterator_tIS9_NS6_12zip_iteratorINS7_INS6_17counting_iteratorIiNS6_11use_defaultESG_SG_EENS6_6detail15normal_iteratorINS6_10device_ptrIfEEEES8_S8_S8_S8_S8_S8_S8_S8_EEEE15transform_tupleIifEEEPS9_S9_12reduce_tupleIifEEE10hipError_tPvRmT1_T2_T3_mT4_P12ihipStream_tbEUlT_E1_NS1_11comp_targetILNS1_3genE5ELNS1_11target_archE942ELNS1_3gpuE9ELNS1_3repE0EEENS1_30default_config_static_selectorELNS0_4arch9wavefront6targetE0EEEvSY_.has_recursion, 0
	.set _ZN7rocprim17ROCPRIM_400000_NS6detail17trampoline_kernelINS0_14default_configENS1_22reduce_config_selectorIN6thrust23THRUST_200600_302600_NS5tupleIbffNS6_9null_typeES8_S8_S8_S8_S8_S8_EEEEZNS1_11reduce_implILb1ES3_NS6_11hip_rocprim26transform_input_iterator_tIS9_NS6_12zip_iteratorINS7_INS6_17counting_iteratorIiNS6_11use_defaultESG_SG_EENS6_6detail15normal_iteratorINS6_10device_ptrIfEEEES8_S8_S8_S8_S8_S8_S8_S8_EEEE15transform_tupleIifEEEPS9_S9_12reduce_tupleIifEEE10hipError_tPvRmT1_T2_T3_mT4_P12ihipStream_tbEUlT_E1_NS1_11comp_targetILNS1_3genE5ELNS1_11target_archE942ELNS1_3gpuE9ELNS1_3repE0EEENS1_30default_config_static_selectorELNS0_4arch9wavefront6targetE0EEEvSY_.has_indirect_call, 0
	.section	.AMDGPU.csdata,"",@progbits
; Kernel info:
; codeLenInByte = 0
; TotalNumSgprs: 0
; NumVgprs: 0
; ScratchSize: 0
; MemoryBound: 0
; FloatMode: 240
; IeeeMode: 1
; LDSByteSize: 0 bytes/workgroup (compile time only)
; SGPRBlocks: 0
; VGPRBlocks: 0
; NumSGPRsForWavesPerEU: 1
; NumVGPRsForWavesPerEU: 1
; Occupancy: 16
; WaveLimiterHint : 0
; COMPUTE_PGM_RSRC2:SCRATCH_EN: 0
; COMPUTE_PGM_RSRC2:USER_SGPR: 6
; COMPUTE_PGM_RSRC2:TRAP_HANDLER: 0
; COMPUTE_PGM_RSRC2:TGID_X_EN: 1
; COMPUTE_PGM_RSRC2:TGID_Y_EN: 0
; COMPUTE_PGM_RSRC2:TGID_Z_EN: 0
; COMPUTE_PGM_RSRC2:TIDIG_COMP_CNT: 0
	.section	.text._ZN7rocprim17ROCPRIM_400000_NS6detail17trampoline_kernelINS0_14default_configENS1_22reduce_config_selectorIN6thrust23THRUST_200600_302600_NS5tupleIbffNS6_9null_typeES8_S8_S8_S8_S8_S8_EEEEZNS1_11reduce_implILb1ES3_NS6_11hip_rocprim26transform_input_iterator_tIS9_NS6_12zip_iteratorINS7_INS6_17counting_iteratorIiNS6_11use_defaultESG_SG_EENS6_6detail15normal_iteratorINS6_10device_ptrIfEEEES8_S8_S8_S8_S8_S8_S8_S8_EEEE15transform_tupleIifEEEPS9_S9_12reduce_tupleIifEEE10hipError_tPvRmT1_T2_T3_mT4_P12ihipStream_tbEUlT_E1_NS1_11comp_targetILNS1_3genE4ELNS1_11target_archE910ELNS1_3gpuE8ELNS1_3repE0EEENS1_30default_config_static_selectorELNS0_4arch9wavefront6targetE0EEEvSY_,"axG",@progbits,_ZN7rocprim17ROCPRIM_400000_NS6detail17trampoline_kernelINS0_14default_configENS1_22reduce_config_selectorIN6thrust23THRUST_200600_302600_NS5tupleIbffNS6_9null_typeES8_S8_S8_S8_S8_S8_EEEEZNS1_11reduce_implILb1ES3_NS6_11hip_rocprim26transform_input_iterator_tIS9_NS6_12zip_iteratorINS7_INS6_17counting_iteratorIiNS6_11use_defaultESG_SG_EENS6_6detail15normal_iteratorINS6_10device_ptrIfEEEES8_S8_S8_S8_S8_S8_S8_S8_EEEE15transform_tupleIifEEEPS9_S9_12reduce_tupleIifEEE10hipError_tPvRmT1_T2_T3_mT4_P12ihipStream_tbEUlT_E1_NS1_11comp_targetILNS1_3genE4ELNS1_11target_archE910ELNS1_3gpuE8ELNS1_3repE0EEENS1_30default_config_static_selectorELNS0_4arch9wavefront6targetE0EEEvSY_,comdat
	.protected	_ZN7rocprim17ROCPRIM_400000_NS6detail17trampoline_kernelINS0_14default_configENS1_22reduce_config_selectorIN6thrust23THRUST_200600_302600_NS5tupleIbffNS6_9null_typeES8_S8_S8_S8_S8_S8_EEEEZNS1_11reduce_implILb1ES3_NS6_11hip_rocprim26transform_input_iterator_tIS9_NS6_12zip_iteratorINS7_INS6_17counting_iteratorIiNS6_11use_defaultESG_SG_EENS6_6detail15normal_iteratorINS6_10device_ptrIfEEEES8_S8_S8_S8_S8_S8_S8_S8_EEEE15transform_tupleIifEEEPS9_S9_12reduce_tupleIifEEE10hipError_tPvRmT1_T2_T3_mT4_P12ihipStream_tbEUlT_E1_NS1_11comp_targetILNS1_3genE4ELNS1_11target_archE910ELNS1_3gpuE8ELNS1_3repE0EEENS1_30default_config_static_selectorELNS0_4arch9wavefront6targetE0EEEvSY_ ; -- Begin function _ZN7rocprim17ROCPRIM_400000_NS6detail17trampoline_kernelINS0_14default_configENS1_22reduce_config_selectorIN6thrust23THRUST_200600_302600_NS5tupleIbffNS6_9null_typeES8_S8_S8_S8_S8_S8_EEEEZNS1_11reduce_implILb1ES3_NS6_11hip_rocprim26transform_input_iterator_tIS9_NS6_12zip_iteratorINS7_INS6_17counting_iteratorIiNS6_11use_defaultESG_SG_EENS6_6detail15normal_iteratorINS6_10device_ptrIfEEEES8_S8_S8_S8_S8_S8_S8_S8_EEEE15transform_tupleIifEEEPS9_S9_12reduce_tupleIifEEE10hipError_tPvRmT1_T2_T3_mT4_P12ihipStream_tbEUlT_E1_NS1_11comp_targetILNS1_3genE4ELNS1_11target_archE910ELNS1_3gpuE8ELNS1_3repE0EEENS1_30default_config_static_selectorELNS0_4arch9wavefront6targetE0EEEvSY_
	.globl	_ZN7rocprim17ROCPRIM_400000_NS6detail17trampoline_kernelINS0_14default_configENS1_22reduce_config_selectorIN6thrust23THRUST_200600_302600_NS5tupleIbffNS6_9null_typeES8_S8_S8_S8_S8_S8_EEEEZNS1_11reduce_implILb1ES3_NS6_11hip_rocprim26transform_input_iterator_tIS9_NS6_12zip_iteratorINS7_INS6_17counting_iteratorIiNS6_11use_defaultESG_SG_EENS6_6detail15normal_iteratorINS6_10device_ptrIfEEEES8_S8_S8_S8_S8_S8_S8_S8_EEEE15transform_tupleIifEEEPS9_S9_12reduce_tupleIifEEE10hipError_tPvRmT1_T2_T3_mT4_P12ihipStream_tbEUlT_E1_NS1_11comp_targetILNS1_3genE4ELNS1_11target_archE910ELNS1_3gpuE8ELNS1_3repE0EEENS1_30default_config_static_selectorELNS0_4arch9wavefront6targetE0EEEvSY_
	.p2align	8
	.type	_ZN7rocprim17ROCPRIM_400000_NS6detail17trampoline_kernelINS0_14default_configENS1_22reduce_config_selectorIN6thrust23THRUST_200600_302600_NS5tupleIbffNS6_9null_typeES8_S8_S8_S8_S8_S8_EEEEZNS1_11reduce_implILb1ES3_NS6_11hip_rocprim26transform_input_iterator_tIS9_NS6_12zip_iteratorINS7_INS6_17counting_iteratorIiNS6_11use_defaultESG_SG_EENS6_6detail15normal_iteratorINS6_10device_ptrIfEEEES8_S8_S8_S8_S8_S8_S8_S8_EEEE15transform_tupleIifEEEPS9_S9_12reduce_tupleIifEEE10hipError_tPvRmT1_T2_T3_mT4_P12ihipStream_tbEUlT_E1_NS1_11comp_targetILNS1_3genE4ELNS1_11target_archE910ELNS1_3gpuE8ELNS1_3repE0EEENS1_30default_config_static_selectorELNS0_4arch9wavefront6targetE0EEEvSY_,@function
_ZN7rocprim17ROCPRIM_400000_NS6detail17trampoline_kernelINS0_14default_configENS1_22reduce_config_selectorIN6thrust23THRUST_200600_302600_NS5tupleIbffNS6_9null_typeES8_S8_S8_S8_S8_S8_EEEEZNS1_11reduce_implILb1ES3_NS6_11hip_rocprim26transform_input_iterator_tIS9_NS6_12zip_iteratorINS7_INS6_17counting_iteratorIiNS6_11use_defaultESG_SG_EENS6_6detail15normal_iteratorINS6_10device_ptrIfEEEES8_S8_S8_S8_S8_S8_S8_S8_EEEE15transform_tupleIifEEEPS9_S9_12reduce_tupleIifEEE10hipError_tPvRmT1_T2_T3_mT4_P12ihipStream_tbEUlT_E1_NS1_11comp_targetILNS1_3genE4ELNS1_11target_archE910ELNS1_3gpuE8ELNS1_3repE0EEENS1_30default_config_static_selectorELNS0_4arch9wavefront6targetE0EEEvSY_: ; @_ZN7rocprim17ROCPRIM_400000_NS6detail17trampoline_kernelINS0_14default_configENS1_22reduce_config_selectorIN6thrust23THRUST_200600_302600_NS5tupleIbffNS6_9null_typeES8_S8_S8_S8_S8_S8_EEEEZNS1_11reduce_implILb1ES3_NS6_11hip_rocprim26transform_input_iterator_tIS9_NS6_12zip_iteratorINS7_INS6_17counting_iteratorIiNS6_11use_defaultESG_SG_EENS6_6detail15normal_iteratorINS6_10device_ptrIfEEEES8_S8_S8_S8_S8_S8_S8_S8_EEEE15transform_tupleIifEEEPS9_S9_12reduce_tupleIifEEE10hipError_tPvRmT1_T2_T3_mT4_P12ihipStream_tbEUlT_E1_NS1_11comp_targetILNS1_3genE4ELNS1_11target_archE910ELNS1_3gpuE8ELNS1_3repE0EEENS1_30default_config_static_selectorELNS0_4arch9wavefront6targetE0EEEvSY_
; %bb.0:
	.section	.rodata,"a",@progbits
	.p2align	6, 0x0
	.amdhsa_kernel _ZN7rocprim17ROCPRIM_400000_NS6detail17trampoline_kernelINS0_14default_configENS1_22reduce_config_selectorIN6thrust23THRUST_200600_302600_NS5tupleIbffNS6_9null_typeES8_S8_S8_S8_S8_S8_EEEEZNS1_11reduce_implILb1ES3_NS6_11hip_rocprim26transform_input_iterator_tIS9_NS6_12zip_iteratorINS7_INS6_17counting_iteratorIiNS6_11use_defaultESG_SG_EENS6_6detail15normal_iteratorINS6_10device_ptrIfEEEES8_S8_S8_S8_S8_S8_S8_S8_EEEE15transform_tupleIifEEEPS9_S9_12reduce_tupleIifEEE10hipError_tPvRmT1_T2_T3_mT4_P12ihipStream_tbEUlT_E1_NS1_11comp_targetILNS1_3genE4ELNS1_11target_archE910ELNS1_3gpuE8ELNS1_3repE0EEENS1_30default_config_static_selectorELNS0_4arch9wavefront6targetE0EEEvSY_
		.amdhsa_group_segment_fixed_size 0
		.amdhsa_private_segment_fixed_size 0
		.amdhsa_kernarg_size 64
		.amdhsa_user_sgpr_count 6
		.amdhsa_user_sgpr_private_segment_buffer 1
		.amdhsa_user_sgpr_dispatch_ptr 0
		.amdhsa_user_sgpr_queue_ptr 0
		.amdhsa_user_sgpr_kernarg_segment_ptr 1
		.amdhsa_user_sgpr_dispatch_id 0
		.amdhsa_user_sgpr_flat_scratch_init 0
		.amdhsa_user_sgpr_private_segment_size 0
		.amdhsa_wavefront_size32 1
		.amdhsa_uses_dynamic_stack 0
		.amdhsa_system_sgpr_private_segment_wavefront_offset 0
		.amdhsa_system_sgpr_workgroup_id_x 1
		.amdhsa_system_sgpr_workgroup_id_y 0
		.amdhsa_system_sgpr_workgroup_id_z 0
		.amdhsa_system_sgpr_workgroup_info 0
		.amdhsa_system_vgpr_workitem_id 0
		.amdhsa_next_free_vgpr 1
		.amdhsa_next_free_sgpr 1
		.amdhsa_reserve_vcc 0
		.amdhsa_reserve_flat_scratch 0
		.amdhsa_float_round_mode_32 0
		.amdhsa_float_round_mode_16_64 0
		.amdhsa_float_denorm_mode_32 3
		.amdhsa_float_denorm_mode_16_64 3
		.amdhsa_dx10_clamp 1
		.amdhsa_ieee_mode 1
		.amdhsa_fp16_overflow 0
		.amdhsa_workgroup_processor_mode 1
		.amdhsa_memory_ordered 1
		.amdhsa_forward_progress 1
		.amdhsa_shared_vgpr_count 0
		.amdhsa_exception_fp_ieee_invalid_op 0
		.amdhsa_exception_fp_denorm_src 0
		.amdhsa_exception_fp_ieee_div_zero 0
		.amdhsa_exception_fp_ieee_overflow 0
		.amdhsa_exception_fp_ieee_underflow 0
		.amdhsa_exception_fp_ieee_inexact 0
		.amdhsa_exception_int_div_zero 0
	.end_amdhsa_kernel
	.section	.text._ZN7rocprim17ROCPRIM_400000_NS6detail17trampoline_kernelINS0_14default_configENS1_22reduce_config_selectorIN6thrust23THRUST_200600_302600_NS5tupleIbffNS6_9null_typeES8_S8_S8_S8_S8_S8_EEEEZNS1_11reduce_implILb1ES3_NS6_11hip_rocprim26transform_input_iterator_tIS9_NS6_12zip_iteratorINS7_INS6_17counting_iteratorIiNS6_11use_defaultESG_SG_EENS6_6detail15normal_iteratorINS6_10device_ptrIfEEEES8_S8_S8_S8_S8_S8_S8_S8_EEEE15transform_tupleIifEEEPS9_S9_12reduce_tupleIifEEE10hipError_tPvRmT1_T2_T3_mT4_P12ihipStream_tbEUlT_E1_NS1_11comp_targetILNS1_3genE4ELNS1_11target_archE910ELNS1_3gpuE8ELNS1_3repE0EEENS1_30default_config_static_selectorELNS0_4arch9wavefront6targetE0EEEvSY_,"axG",@progbits,_ZN7rocprim17ROCPRIM_400000_NS6detail17trampoline_kernelINS0_14default_configENS1_22reduce_config_selectorIN6thrust23THRUST_200600_302600_NS5tupleIbffNS6_9null_typeES8_S8_S8_S8_S8_S8_EEEEZNS1_11reduce_implILb1ES3_NS6_11hip_rocprim26transform_input_iterator_tIS9_NS6_12zip_iteratorINS7_INS6_17counting_iteratorIiNS6_11use_defaultESG_SG_EENS6_6detail15normal_iteratorINS6_10device_ptrIfEEEES8_S8_S8_S8_S8_S8_S8_S8_EEEE15transform_tupleIifEEEPS9_S9_12reduce_tupleIifEEE10hipError_tPvRmT1_T2_T3_mT4_P12ihipStream_tbEUlT_E1_NS1_11comp_targetILNS1_3genE4ELNS1_11target_archE910ELNS1_3gpuE8ELNS1_3repE0EEENS1_30default_config_static_selectorELNS0_4arch9wavefront6targetE0EEEvSY_,comdat
.Lfunc_end30:
	.size	_ZN7rocprim17ROCPRIM_400000_NS6detail17trampoline_kernelINS0_14default_configENS1_22reduce_config_selectorIN6thrust23THRUST_200600_302600_NS5tupleIbffNS6_9null_typeES8_S8_S8_S8_S8_S8_EEEEZNS1_11reduce_implILb1ES3_NS6_11hip_rocprim26transform_input_iterator_tIS9_NS6_12zip_iteratorINS7_INS6_17counting_iteratorIiNS6_11use_defaultESG_SG_EENS6_6detail15normal_iteratorINS6_10device_ptrIfEEEES8_S8_S8_S8_S8_S8_S8_S8_EEEE15transform_tupleIifEEEPS9_S9_12reduce_tupleIifEEE10hipError_tPvRmT1_T2_T3_mT4_P12ihipStream_tbEUlT_E1_NS1_11comp_targetILNS1_3genE4ELNS1_11target_archE910ELNS1_3gpuE8ELNS1_3repE0EEENS1_30default_config_static_selectorELNS0_4arch9wavefront6targetE0EEEvSY_, .Lfunc_end30-_ZN7rocprim17ROCPRIM_400000_NS6detail17trampoline_kernelINS0_14default_configENS1_22reduce_config_selectorIN6thrust23THRUST_200600_302600_NS5tupleIbffNS6_9null_typeES8_S8_S8_S8_S8_S8_EEEEZNS1_11reduce_implILb1ES3_NS6_11hip_rocprim26transform_input_iterator_tIS9_NS6_12zip_iteratorINS7_INS6_17counting_iteratorIiNS6_11use_defaultESG_SG_EENS6_6detail15normal_iteratorINS6_10device_ptrIfEEEES8_S8_S8_S8_S8_S8_S8_S8_EEEE15transform_tupleIifEEEPS9_S9_12reduce_tupleIifEEE10hipError_tPvRmT1_T2_T3_mT4_P12ihipStream_tbEUlT_E1_NS1_11comp_targetILNS1_3genE4ELNS1_11target_archE910ELNS1_3gpuE8ELNS1_3repE0EEENS1_30default_config_static_selectorELNS0_4arch9wavefront6targetE0EEEvSY_
                                        ; -- End function
	.set _ZN7rocprim17ROCPRIM_400000_NS6detail17trampoline_kernelINS0_14default_configENS1_22reduce_config_selectorIN6thrust23THRUST_200600_302600_NS5tupleIbffNS6_9null_typeES8_S8_S8_S8_S8_S8_EEEEZNS1_11reduce_implILb1ES3_NS6_11hip_rocprim26transform_input_iterator_tIS9_NS6_12zip_iteratorINS7_INS6_17counting_iteratorIiNS6_11use_defaultESG_SG_EENS6_6detail15normal_iteratorINS6_10device_ptrIfEEEES8_S8_S8_S8_S8_S8_S8_S8_EEEE15transform_tupleIifEEEPS9_S9_12reduce_tupleIifEEE10hipError_tPvRmT1_T2_T3_mT4_P12ihipStream_tbEUlT_E1_NS1_11comp_targetILNS1_3genE4ELNS1_11target_archE910ELNS1_3gpuE8ELNS1_3repE0EEENS1_30default_config_static_selectorELNS0_4arch9wavefront6targetE0EEEvSY_.num_vgpr, 0
	.set _ZN7rocprim17ROCPRIM_400000_NS6detail17trampoline_kernelINS0_14default_configENS1_22reduce_config_selectorIN6thrust23THRUST_200600_302600_NS5tupleIbffNS6_9null_typeES8_S8_S8_S8_S8_S8_EEEEZNS1_11reduce_implILb1ES3_NS6_11hip_rocprim26transform_input_iterator_tIS9_NS6_12zip_iteratorINS7_INS6_17counting_iteratorIiNS6_11use_defaultESG_SG_EENS6_6detail15normal_iteratorINS6_10device_ptrIfEEEES8_S8_S8_S8_S8_S8_S8_S8_EEEE15transform_tupleIifEEEPS9_S9_12reduce_tupleIifEEE10hipError_tPvRmT1_T2_T3_mT4_P12ihipStream_tbEUlT_E1_NS1_11comp_targetILNS1_3genE4ELNS1_11target_archE910ELNS1_3gpuE8ELNS1_3repE0EEENS1_30default_config_static_selectorELNS0_4arch9wavefront6targetE0EEEvSY_.num_agpr, 0
	.set _ZN7rocprim17ROCPRIM_400000_NS6detail17trampoline_kernelINS0_14default_configENS1_22reduce_config_selectorIN6thrust23THRUST_200600_302600_NS5tupleIbffNS6_9null_typeES8_S8_S8_S8_S8_S8_EEEEZNS1_11reduce_implILb1ES3_NS6_11hip_rocprim26transform_input_iterator_tIS9_NS6_12zip_iteratorINS7_INS6_17counting_iteratorIiNS6_11use_defaultESG_SG_EENS6_6detail15normal_iteratorINS6_10device_ptrIfEEEES8_S8_S8_S8_S8_S8_S8_S8_EEEE15transform_tupleIifEEEPS9_S9_12reduce_tupleIifEEE10hipError_tPvRmT1_T2_T3_mT4_P12ihipStream_tbEUlT_E1_NS1_11comp_targetILNS1_3genE4ELNS1_11target_archE910ELNS1_3gpuE8ELNS1_3repE0EEENS1_30default_config_static_selectorELNS0_4arch9wavefront6targetE0EEEvSY_.numbered_sgpr, 0
	.set _ZN7rocprim17ROCPRIM_400000_NS6detail17trampoline_kernelINS0_14default_configENS1_22reduce_config_selectorIN6thrust23THRUST_200600_302600_NS5tupleIbffNS6_9null_typeES8_S8_S8_S8_S8_S8_EEEEZNS1_11reduce_implILb1ES3_NS6_11hip_rocprim26transform_input_iterator_tIS9_NS6_12zip_iteratorINS7_INS6_17counting_iteratorIiNS6_11use_defaultESG_SG_EENS6_6detail15normal_iteratorINS6_10device_ptrIfEEEES8_S8_S8_S8_S8_S8_S8_S8_EEEE15transform_tupleIifEEEPS9_S9_12reduce_tupleIifEEE10hipError_tPvRmT1_T2_T3_mT4_P12ihipStream_tbEUlT_E1_NS1_11comp_targetILNS1_3genE4ELNS1_11target_archE910ELNS1_3gpuE8ELNS1_3repE0EEENS1_30default_config_static_selectorELNS0_4arch9wavefront6targetE0EEEvSY_.num_named_barrier, 0
	.set _ZN7rocprim17ROCPRIM_400000_NS6detail17trampoline_kernelINS0_14default_configENS1_22reduce_config_selectorIN6thrust23THRUST_200600_302600_NS5tupleIbffNS6_9null_typeES8_S8_S8_S8_S8_S8_EEEEZNS1_11reduce_implILb1ES3_NS6_11hip_rocprim26transform_input_iterator_tIS9_NS6_12zip_iteratorINS7_INS6_17counting_iteratorIiNS6_11use_defaultESG_SG_EENS6_6detail15normal_iteratorINS6_10device_ptrIfEEEES8_S8_S8_S8_S8_S8_S8_S8_EEEE15transform_tupleIifEEEPS9_S9_12reduce_tupleIifEEE10hipError_tPvRmT1_T2_T3_mT4_P12ihipStream_tbEUlT_E1_NS1_11comp_targetILNS1_3genE4ELNS1_11target_archE910ELNS1_3gpuE8ELNS1_3repE0EEENS1_30default_config_static_selectorELNS0_4arch9wavefront6targetE0EEEvSY_.private_seg_size, 0
	.set _ZN7rocprim17ROCPRIM_400000_NS6detail17trampoline_kernelINS0_14default_configENS1_22reduce_config_selectorIN6thrust23THRUST_200600_302600_NS5tupleIbffNS6_9null_typeES8_S8_S8_S8_S8_S8_EEEEZNS1_11reduce_implILb1ES3_NS6_11hip_rocprim26transform_input_iterator_tIS9_NS6_12zip_iteratorINS7_INS6_17counting_iteratorIiNS6_11use_defaultESG_SG_EENS6_6detail15normal_iteratorINS6_10device_ptrIfEEEES8_S8_S8_S8_S8_S8_S8_S8_EEEE15transform_tupleIifEEEPS9_S9_12reduce_tupleIifEEE10hipError_tPvRmT1_T2_T3_mT4_P12ihipStream_tbEUlT_E1_NS1_11comp_targetILNS1_3genE4ELNS1_11target_archE910ELNS1_3gpuE8ELNS1_3repE0EEENS1_30default_config_static_selectorELNS0_4arch9wavefront6targetE0EEEvSY_.uses_vcc, 0
	.set _ZN7rocprim17ROCPRIM_400000_NS6detail17trampoline_kernelINS0_14default_configENS1_22reduce_config_selectorIN6thrust23THRUST_200600_302600_NS5tupleIbffNS6_9null_typeES8_S8_S8_S8_S8_S8_EEEEZNS1_11reduce_implILb1ES3_NS6_11hip_rocprim26transform_input_iterator_tIS9_NS6_12zip_iteratorINS7_INS6_17counting_iteratorIiNS6_11use_defaultESG_SG_EENS6_6detail15normal_iteratorINS6_10device_ptrIfEEEES8_S8_S8_S8_S8_S8_S8_S8_EEEE15transform_tupleIifEEEPS9_S9_12reduce_tupleIifEEE10hipError_tPvRmT1_T2_T3_mT4_P12ihipStream_tbEUlT_E1_NS1_11comp_targetILNS1_3genE4ELNS1_11target_archE910ELNS1_3gpuE8ELNS1_3repE0EEENS1_30default_config_static_selectorELNS0_4arch9wavefront6targetE0EEEvSY_.uses_flat_scratch, 0
	.set _ZN7rocprim17ROCPRIM_400000_NS6detail17trampoline_kernelINS0_14default_configENS1_22reduce_config_selectorIN6thrust23THRUST_200600_302600_NS5tupleIbffNS6_9null_typeES8_S8_S8_S8_S8_S8_EEEEZNS1_11reduce_implILb1ES3_NS6_11hip_rocprim26transform_input_iterator_tIS9_NS6_12zip_iteratorINS7_INS6_17counting_iteratorIiNS6_11use_defaultESG_SG_EENS6_6detail15normal_iteratorINS6_10device_ptrIfEEEES8_S8_S8_S8_S8_S8_S8_S8_EEEE15transform_tupleIifEEEPS9_S9_12reduce_tupleIifEEE10hipError_tPvRmT1_T2_T3_mT4_P12ihipStream_tbEUlT_E1_NS1_11comp_targetILNS1_3genE4ELNS1_11target_archE910ELNS1_3gpuE8ELNS1_3repE0EEENS1_30default_config_static_selectorELNS0_4arch9wavefront6targetE0EEEvSY_.has_dyn_sized_stack, 0
	.set _ZN7rocprim17ROCPRIM_400000_NS6detail17trampoline_kernelINS0_14default_configENS1_22reduce_config_selectorIN6thrust23THRUST_200600_302600_NS5tupleIbffNS6_9null_typeES8_S8_S8_S8_S8_S8_EEEEZNS1_11reduce_implILb1ES3_NS6_11hip_rocprim26transform_input_iterator_tIS9_NS6_12zip_iteratorINS7_INS6_17counting_iteratorIiNS6_11use_defaultESG_SG_EENS6_6detail15normal_iteratorINS6_10device_ptrIfEEEES8_S8_S8_S8_S8_S8_S8_S8_EEEE15transform_tupleIifEEEPS9_S9_12reduce_tupleIifEEE10hipError_tPvRmT1_T2_T3_mT4_P12ihipStream_tbEUlT_E1_NS1_11comp_targetILNS1_3genE4ELNS1_11target_archE910ELNS1_3gpuE8ELNS1_3repE0EEENS1_30default_config_static_selectorELNS0_4arch9wavefront6targetE0EEEvSY_.has_recursion, 0
	.set _ZN7rocprim17ROCPRIM_400000_NS6detail17trampoline_kernelINS0_14default_configENS1_22reduce_config_selectorIN6thrust23THRUST_200600_302600_NS5tupleIbffNS6_9null_typeES8_S8_S8_S8_S8_S8_EEEEZNS1_11reduce_implILb1ES3_NS6_11hip_rocprim26transform_input_iterator_tIS9_NS6_12zip_iteratorINS7_INS6_17counting_iteratorIiNS6_11use_defaultESG_SG_EENS6_6detail15normal_iteratorINS6_10device_ptrIfEEEES8_S8_S8_S8_S8_S8_S8_S8_EEEE15transform_tupleIifEEEPS9_S9_12reduce_tupleIifEEE10hipError_tPvRmT1_T2_T3_mT4_P12ihipStream_tbEUlT_E1_NS1_11comp_targetILNS1_3genE4ELNS1_11target_archE910ELNS1_3gpuE8ELNS1_3repE0EEENS1_30default_config_static_selectorELNS0_4arch9wavefront6targetE0EEEvSY_.has_indirect_call, 0
	.section	.AMDGPU.csdata,"",@progbits
; Kernel info:
; codeLenInByte = 0
; TotalNumSgprs: 0
; NumVgprs: 0
; ScratchSize: 0
; MemoryBound: 0
; FloatMode: 240
; IeeeMode: 1
; LDSByteSize: 0 bytes/workgroup (compile time only)
; SGPRBlocks: 0
; VGPRBlocks: 0
; NumSGPRsForWavesPerEU: 1
; NumVGPRsForWavesPerEU: 1
; Occupancy: 16
; WaveLimiterHint : 0
; COMPUTE_PGM_RSRC2:SCRATCH_EN: 0
; COMPUTE_PGM_RSRC2:USER_SGPR: 6
; COMPUTE_PGM_RSRC2:TRAP_HANDLER: 0
; COMPUTE_PGM_RSRC2:TGID_X_EN: 1
; COMPUTE_PGM_RSRC2:TGID_Y_EN: 0
; COMPUTE_PGM_RSRC2:TGID_Z_EN: 0
; COMPUTE_PGM_RSRC2:TIDIG_COMP_CNT: 0
	.section	.text._ZN7rocprim17ROCPRIM_400000_NS6detail17trampoline_kernelINS0_14default_configENS1_22reduce_config_selectorIN6thrust23THRUST_200600_302600_NS5tupleIbffNS6_9null_typeES8_S8_S8_S8_S8_S8_EEEEZNS1_11reduce_implILb1ES3_NS6_11hip_rocprim26transform_input_iterator_tIS9_NS6_12zip_iteratorINS7_INS6_17counting_iteratorIiNS6_11use_defaultESG_SG_EENS6_6detail15normal_iteratorINS6_10device_ptrIfEEEES8_S8_S8_S8_S8_S8_S8_S8_EEEE15transform_tupleIifEEEPS9_S9_12reduce_tupleIifEEE10hipError_tPvRmT1_T2_T3_mT4_P12ihipStream_tbEUlT_E1_NS1_11comp_targetILNS1_3genE3ELNS1_11target_archE908ELNS1_3gpuE7ELNS1_3repE0EEENS1_30default_config_static_selectorELNS0_4arch9wavefront6targetE0EEEvSY_,"axG",@progbits,_ZN7rocprim17ROCPRIM_400000_NS6detail17trampoline_kernelINS0_14default_configENS1_22reduce_config_selectorIN6thrust23THRUST_200600_302600_NS5tupleIbffNS6_9null_typeES8_S8_S8_S8_S8_S8_EEEEZNS1_11reduce_implILb1ES3_NS6_11hip_rocprim26transform_input_iterator_tIS9_NS6_12zip_iteratorINS7_INS6_17counting_iteratorIiNS6_11use_defaultESG_SG_EENS6_6detail15normal_iteratorINS6_10device_ptrIfEEEES8_S8_S8_S8_S8_S8_S8_S8_EEEE15transform_tupleIifEEEPS9_S9_12reduce_tupleIifEEE10hipError_tPvRmT1_T2_T3_mT4_P12ihipStream_tbEUlT_E1_NS1_11comp_targetILNS1_3genE3ELNS1_11target_archE908ELNS1_3gpuE7ELNS1_3repE0EEENS1_30default_config_static_selectorELNS0_4arch9wavefront6targetE0EEEvSY_,comdat
	.protected	_ZN7rocprim17ROCPRIM_400000_NS6detail17trampoline_kernelINS0_14default_configENS1_22reduce_config_selectorIN6thrust23THRUST_200600_302600_NS5tupleIbffNS6_9null_typeES8_S8_S8_S8_S8_S8_EEEEZNS1_11reduce_implILb1ES3_NS6_11hip_rocprim26transform_input_iterator_tIS9_NS6_12zip_iteratorINS7_INS6_17counting_iteratorIiNS6_11use_defaultESG_SG_EENS6_6detail15normal_iteratorINS6_10device_ptrIfEEEES8_S8_S8_S8_S8_S8_S8_S8_EEEE15transform_tupleIifEEEPS9_S9_12reduce_tupleIifEEE10hipError_tPvRmT1_T2_T3_mT4_P12ihipStream_tbEUlT_E1_NS1_11comp_targetILNS1_3genE3ELNS1_11target_archE908ELNS1_3gpuE7ELNS1_3repE0EEENS1_30default_config_static_selectorELNS0_4arch9wavefront6targetE0EEEvSY_ ; -- Begin function _ZN7rocprim17ROCPRIM_400000_NS6detail17trampoline_kernelINS0_14default_configENS1_22reduce_config_selectorIN6thrust23THRUST_200600_302600_NS5tupleIbffNS6_9null_typeES8_S8_S8_S8_S8_S8_EEEEZNS1_11reduce_implILb1ES3_NS6_11hip_rocprim26transform_input_iterator_tIS9_NS6_12zip_iteratorINS7_INS6_17counting_iteratorIiNS6_11use_defaultESG_SG_EENS6_6detail15normal_iteratorINS6_10device_ptrIfEEEES8_S8_S8_S8_S8_S8_S8_S8_EEEE15transform_tupleIifEEEPS9_S9_12reduce_tupleIifEEE10hipError_tPvRmT1_T2_T3_mT4_P12ihipStream_tbEUlT_E1_NS1_11comp_targetILNS1_3genE3ELNS1_11target_archE908ELNS1_3gpuE7ELNS1_3repE0EEENS1_30default_config_static_selectorELNS0_4arch9wavefront6targetE0EEEvSY_
	.globl	_ZN7rocprim17ROCPRIM_400000_NS6detail17trampoline_kernelINS0_14default_configENS1_22reduce_config_selectorIN6thrust23THRUST_200600_302600_NS5tupleIbffNS6_9null_typeES8_S8_S8_S8_S8_S8_EEEEZNS1_11reduce_implILb1ES3_NS6_11hip_rocprim26transform_input_iterator_tIS9_NS6_12zip_iteratorINS7_INS6_17counting_iteratorIiNS6_11use_defaultESG_SG_EENS6_6detail15normal_iteratorINS6_10device_ptrIfEEEES8_S8_S8_S8_S8_S8_S8_S8_EEEE15transform_tupleIifEEEPS9_S9_12reduce_tupleIifEEE10hipError_tPvRmT1_T2_T3_mT4_P12ihipStream_tbEUlT_E1_NS1_11comp_targetILNS1_3genE3ELNS1_11target_archE908ELNS1_3gpuE7ELNS1_3repE0EEENS1_30default_config_static_selectorELNS0_4arch9wavefront6targetE0EEEvSY_
	.p2align	8
	.type	_ZN7rocprim17ROCPRIM_400000_NS6detail17trampoline_kernelINS0_14default_configENS1_22reduce_config_selectorIN6thrust23THRUST_200600_302600_NS5tupleIbffNS6_9null_typeES8_S8_S8_S8_S8_S8_EEEEZNS1_11reduce_implILb1ES3_NS6_11hip_rocprim26transform_input_iterator_tIS9_NS6_12zip_iteratorINS7_INS6_17counting_iteratorIiNS6_11use_defaultESG_SG_EENS6_6detail15normal_iteratorINS6_10device_ptrIfEEEES8_S8_S8_S8_S8_S8_S8_S8_EEEE15transform_tupleIifEEEPS9_S9_12reduce_tupleIifEEE10hipError_tPvRmT1_T2_T3_mT4_P12ihipStream_tbEUlT_E1_NS1_11comp_targetILNS1_3genE3ELNS1_11target_archE908ELNS1_3gpuE7ELNS1_3repE0EEENS1_30default_config_static_selectorELNS0_4arch9wavefront6targetE0EEEvSY_,@function
_ZN7rocprim17ROCPRIM_400000_NS6detail17trampoline_kernelINS0_14default_configENS1_22reduce_config_selectorIN6thrust23THRUST_200600_302600_NS5tupleIbffNS6_9null_typeES8_S8_S8_S8_S8_S8_EEEEZNS1_11reduce_implILb1ES3_NS6_11hip_rocprim26transform_input_iterator_tIS9_NS6_12zip_iteratorINS7_INS6_17counting_iteratorIiNS6_11use_defaultESG_SG_EENS6_6detail15normal_iteratorINS6_10device_ptrIfEEEES8_S8_S8_S8_S8_S8_S8_S8_EEEE15transform_tupleIifEEEPS9_S9_12reduce_tupleIifEEE10hipError_tPvRmT1_T2_T3_mT4_P12ihipStream_tbEUlT_E1_NS1_11comp_targetILNS1_3genE3ELNS1_11target_archE908ELNS1_3gpuE7ELNS1_3repE0EEENS1_30default_config_static_selectorELNS0_4arch9wavefront6targetE0EEEvSY_: ; @_ZN7rocprim17ROCPRIM_400000_NS6detail17trampoline_kernelINS0_14default_configENS1_22reduce_config_selectorIN6thrust23THRUST_200600_302600_NS5tupleIbffNS6_9null_typeES8_S8_S8_S8_S8_S8_EEEEZNS1_11reduce_implILb1ES3_NS6_11hip_rocprim26transform_input_iterator_tIS9_NS6_12zip_iteratorINS7_INS6_17counting_iteratorIiNS6_11use_defaultESG_SG_EENS6_6detail15normal_iteratorINS6_10device_ptrIfEEEES8_S8_S8_S8_S8_S8_S8_S8_EEEE15transform_tupleIifEEEPS9_S9_12reduce_tupleIifEEE10hipError_tPvRmT1_T2_T3_mT4_P12ihipStream_tbEUlT_E1_NS1_11comp_targetILNS1_3genE3ELNS1_11target_archE908ELNS1_3gpuE7ELNS1_3repE0EEENS1_30default_config_static_selectorELNS0_4arch9wavefront6targetE0EEEvSY_
; %bb.0:
	.section	.rodata,"a",@progbits
	.p2align	6, 0x0
	.amdhsa_kernel _ZN7rocprim17ROCPRIM_400000_NS6detail17trampoline_kernelINS0_14default_configENS1_22reduce_config_selectorIN6thrust23THRUST_200600_302600_NS5tupleIbffNS6_9null_typeES8_S8_S8_S8_S8_S8_EEEEZNS1_11reduce_implILb1ES3_NS6_11hip_rocprim26transform_input_iterator_tIS9_NS6_12zip_iteratorINS7_INS6_17counting_iteratorIiNS6_11use_defaultESG_SG_EENS6_6detail15normal_iteratorINS6_10device_ptrIfEEEES8_S8_S8_S8_S8_S8_S8_S8_EEEE15transform_tupleIifEEEPS9_S9_12reduce_tupleIifEEE10hipError_tPvRmT1_T2_T3_mT4_P12ihipStream_tbEUlT_E1_NS1_11comp_targetILNS1_3genE3ELNS1_11target_archE908ELNS1_3gpuE7ELNS1_3repE0EEENS1_30default_config_static_selectorELNS0_4arch9wavefront6targetE0EEEvSY_
		.amdhsa_group_segment_fixed_size 0
		.amdhsa_private_segment_fixed_size 0
		.amdhsa_kernarg_size 64
		.amdhsa_user_sgpr_count 6
		.amdhsa_user_sgpr_private_segment_buffer 1
		.amdhsa_user_sgpr_dispatch_ptr 0
		.amdhsa_user_sgpr_queue_ptr 0
		.amdhsa_user_sgpr_kernarg_segment_ptr 1
		.amdhsa_user_sgpr_dispatch_id 0
		.amdhsa_user_sgpr_flat_scratch_init 0
		.amdhsa_user_sgpr_private_segment_size 0
		.amdhsa_wavefront_size32 1
		.amdhsa_uses_dynamic_stack 0
		.amdhsa_system_sgpr_private_segment_wavefront_offset 0
		.amdhsa_system_sgpr_workgroup_id_x 1
		.amdhsa_system_sgpr_workgroup_id_y 0
		.amdhsa_system_sgpr_workgroup_id_z 0
		.amdhsa_system_sgpr_workgroup_info 0
		.amdhsa_system_vgpr_workitem_id 0
		.amdhsa_next_free_vgpr 1
		.amdhsa_next_free_sgpr 1
		.amdhsa_reserve_vcc 0
		.amdhsa_reserve_flat_scratch 0
		.amdhsa_float_round_mode_32 0
		.amdhsa_float_round_mode_16_64 0
		.amdhsa_float_denorm_mode_32 3
		.amdhsa_float_denorm_mode_16_64 3
		.amdhsa_dx10_clamp 1
		.amdhsa_ieee_mode 1
		.amdhsa_fp16_overflow 0
		.amdhsa_workgroup_processor_mode 1
		.amdhsa_memory_ordered 1
		.amdhsa_forward_progress 1
		.amdhsa_shared_vgpr_count 0
		.amdhsa_exception_fp_ieee_invalid_op 0
		.amdhsa_exception_fp_denorm_src 0
		.amdhsa_exception_fp_ieee_div_zero 0
		.amdhsa_exception_fp_ieee_overflow 0
		.amdhsa_exception_fp_ieee_underflow 0
		.amdhsa_exception_fp_ieee_inexact 0
		.amdhsa_exception_int_div_zero 0
	.end_amdhsa_kernel
	.section	.text._ZN7rocprim17ROCPRIM_400000_NS6detail17trampoline_kernelINS0_14default_configENS1_22reduce_config_selectorIN6thrust23THRUST_200600_302600_NS5tupleIbffNS6_9null_typeES8_S8_S8_S8_S8_S8_EEEEZNS1_11reduce_implILb1ES3_NS6_11hip_rocprim26transform_input_iterator_tIS9_NS6_12zip_iteratorINS7_INS6_17counting_iteratorIiNS6_11use_defaultESG_SG_EENS6_6detail15normal_iteratorINS6_10device_ptrIfEEEES8_S8_S8_S8_S8_S8_S8_S8_EEEE15transform_tupleIifEEEPS9_S9_12reduce_tupleIifEEE10hipError_tPvRmT1_T2_T3_mT4_P12ihipStream_tbEUlT_E1_NS1_11comp_targetILNS1_3genE3ELNS1_11target_archE908ELNS1_3gpuE7ELNS1_3repE0EEENS1_30default_config_static_selectorELNS0_4arch9wavefront6targetE0EEEvSY_,"axG",@progbits,_ZN7rocprim17ROCPRIM_400000_NS6detail17trampoline_kernelINS0_14default_configENS1_22reduce_config_selectorIN6thrust23THRUST_200600_302600_NS5tupleIbffNS6_9null_typeES8_S8_S8_S8_S8_S8_EEEEZNS1_11reduce_implILb1ES3_NS6_11hip_rocprim26transform_input_iterator_tIS9_NS6_12zip_iteratorINS7_INS6_17counting_iteratorIiNS6_11use_defaultESG_SG_EENS6_6detail15normal_iteratorINS6_10device_ptrIfEEEES8_S8_S8_S8_S8_S8_S8_S8_EEEE15transform_tupleIifEEEPS9_S9_12reduce_tupleIifEEE10hipError_tPvRmT1_T2_T3_mT4_P12ihipStream_tbEUlT_E1_NS1_11comp_targetILNS1_3genE3ELNS1_11target_archE908ELNS1_3gpuE7ELNS1_3repE0EEENS1_30default_config_static_selectorELNS0_4arch9wavefront6targetE0EEEvSY_,comdat
.Lfunc_end31:
	.size	_ZN7rocprim17ROCPRIM_400000_NS6detail17trampoline_kernelINS0_14default_configENS1_22reduce_config_selectorIN6thrust23THRUST_200600_302600_NS5tupleIbffNS6_9null_typeES8_S8_S8_S8_S8_S8_EEEEZNS1_11reduce_implILb1ES3_NS6_11hip_rocprim26transform_input_iterator_tIS9_NS6_12zip_iteratorINS7_INS6_17counting_iteratorIiNS6_11use_defaultESG_SG_EENS6_6detail15normal_iteratorINS6_10device_ptrIfEEEES8_S8_S8_S8_S8_S8_S8_S8_EEEE15transform_tupleIifEEEPS9_S9_12reduce_tupleIifEEE10hipError_tPvRmT1_T2_T3_mT4_P12ihipStream_tbEUlT_E1_NS1_11comp_targetILNS1_3genE3ELNS1_11target_archE908ELNS1_3gpuE7ELNS1_3repE0EEENS1_30default_config_static_selectorELNS0_4arch9wavefront6targetE0EEEvSY_, .Lfunc_end31-_ZN7rocprim17ROCPRIM_400000_NS6detail17trampoline_kernelINS0_14default_configENS1_22reduce_config_selectorIN6thrust23THRUST_200600_302600_NS5tupleIbffNS6_9null_typeES8_S8_S8_S8_S8_S8_EEEEZNS1_11reduce_implILb1ES3_NS6_11hip_rocprim26transform_input_iterator_tIS9_NS6_12zip_iteratorINS7_INS6_17counting_iteratorIiNS6_11use_defaultESG_SG_EENS6_6detail15normal_iteratorINS6_10device_ptrIfEEEES8_S8_S8_S8_S8_S8_S8_S8_EEEE15transform_tupleIifEEEPS9_S9_12reduce_tupleIifEEE10hipError_tPvRmT1_T2_T3_mT4_P12ihipStream_tbEUlT_E1_NS1_11comp_targetILNS1_3genE3ELNS1_11target_archE908ELNS1_3gpuE7ELNS1_3repE0EEENS1_30default_config_static_selectorELNS0_4arch9wavefront6targetE0EEEvSY_
                                        ; -- End function
	.set _ZN7rocprim17ROCPRIM_400000_NS6detail17trampoline_kernelINS0_14default_configENS1_22reduce_config_selectorIN6thrust23THRUST_200600_302600_NS5tupleIbffNS6_9null_typeES8_S8_S8_S8_S8_S8_EEEEZNS1_11reduce_implILb1ES3_NS6_11hip_rocprim26transform_input_iterator_tIS9_NS6_12zip_iteratorINS7_INS6_17counting_iteratorIiNS6_11use_defaultESG_SG_EENS6_6detail15normal_iteratorINS6_10device_ptrIfEEEES8_S8_S8_S8_S8_S8_S8_S8_EEEE15transform_tupleIifEEEPS9_S9_12reduce_tupleIifEEE10hipError_tPvRmT1_T2_T3_mT4_P12ihipStream_tbEUlT_E1_NS1_11comp_targetILNS1_3genE3ELNS1_11target_archE908ELNS1_3gpuE7ELNS1_3repE0EEENS1_30default_config_static_selectorELNS0_4arch9wavefront6targetE0EEEvSY_.num_vgpr, 0
	.set _ZN7rocprim17ROCPRIM_400000_NS6detail17trampoline_kernelINS0_14default_configENS1_22reduce_config_selectorIN6thrust23THRUST_200600_302600_NS5tupleIbffNS6_9null_typeES8_S8_S8_S8_S8_S8_EEEEZNS1_11reduce_implILb1ES3_NS6_11hip_rocprim26transform_input_iterator_tIS9_NS6_12zip_iteratorINS7_INS6_17counting_iteratorIiNS6_11use_defaultESG_SG_EENS6_6detail15normal_iteratorINS6_10device_ptrIfEEEES8_S8_S8_S8_S8_S8_S8_S8_EEEE15transform_tupleIifEEEPS9_S9_12reduce_tupleIifEEE10hipError_tPvRmT1_T2_T3_mT4_P12ihipStream_tbEUlT_E1_NS1_11comp_targetILNS1_3genE3ELNS1_11target_archE908ELNS1_3gpuE7ELNS1_3repE0EEENS1_30default_config_static_selectorELNS0_4arch9wavefront6targetE0EEEvSY_.num_agpr, 0
	.set _ZN7rocprim17ROCPRIM_400000_NS6detail17trampoline_kernelINS0_14default_configENS1_22reduce_config_selectorIN6thrust23THRUST_200600_302600_NS5tupleIbffNS6_9null_typeES8_S8_S8_S8_S8_S8_EEEEZNS1_11reduce_implILb1ES3_NS6_11hip_rocprim26transform_input_iterator_tIS9_NS6_12zip_iteratorINS7_INS6_17counting_iteratorIiNS6_11use_defaultESG_SG_EENS6_6detail15normal_iteratorINS6_10device_ptrIfEEEES8_S8_S8_S8_S8_S8_S8_S8_EEEE15transform_tupleIifEEEPS9_S9_12reduce_tupleIifEEE10hipError_tPvRmT1_T2_T3_mT4_P12ihipStream_tbEUlT_E1_NS1_11comp_targetILNS1_3genE3ELNS1_11target_archE908ELNS1_3gpuE7ELNS1_3repE0EEENS1_30default_config_static_selectorELNS0_4arch9wavefront6targetE0EEEvSY_.numbered_sgpr, 0
	.set _ZN7rocprim17ROCPRIM_400000_NS6detail17trampoline_kernelINS0_14default_configENS1_22reduce_config_selectorIN6thrust23THRUST_200600_302600_NS5tupleIbffNS6_9null_typeES8_S8_S8_S8_S8_S8_EEEEZNS1_11reduce_implILb1ES3_NS6_11hip_rocprim26transform_input_iterator_tIS9_NS6_12zip_iteratorINS7_INS6_17counting_iteratorIiNS6_11use_defaultESG_SG_EENS6_6detail15normal_iteratorINS6_10device_ptrIfEEEES8_S8_S8_S8_S8_S8_S8_S8_EEEE15transform_tupleIifEEEPS9_S9_12reduce_tupleIifEEE10hipError_tPvRmT1_T2_T3_mT4_P12ihipStream_tbEUlT_E1_NS1_11comp_targetILNS1_3genE3ELNS1_11target_archE908ELNS1_3gpuE7ELNS1_3repE0EEENS1_30default_config_static_selectorELNS0_4arch9wavefront6targetE0EEEvSY_.num_named_barrier, 0
	.set _ZN7rocprim17ROCPRIM_400000_NS6detail17trampoline_kernelINS0_14default_configENS1_22reduce_config_selectorIN6thrust23THRUST_200600_302600_NS5tupleIbffNS6_9null_typeES8_S8_S8_S8_S8_S8_EEEEZNS1_11reduce_implILb1ES3_NS6_11hip_rocprim26transform_input_iterator_tIS9_NS6_12zip_iteratorINS7_INS6_17counting_iteratorIiNS6_11use_defaultESG_SG_EENS6_6detail15normal_iteratorINS6_10device_ptrIfEEEES8_S8_S8_S8_S8_S8_S8_S8_EEEE15transform_tupleIifEEEPS9_S9_12reduce_tupleIifEEE10hipError_tPvRmT1_T2_T3_mT4_P12ihipStream_tbEUlT_E1_NS1_11comp_targetILNS1_3genE3ELNS1_11target_archE908ELNS1_3gpuE7ELNS1_3repE0EEENS1_30default_config_static_selectorELNS0_4arch9wavefront6targetE0EEEvSY_.private_seg_size, 0
	.set _ZN7rocprim17ROCPRIM_400000_NS6detail17trampoline_kernelINS0_14default_configENS1_22reduce_config_selectorIN6thrust23THRUST_200600_302600_NS5tupleIbffNS6_9null_typeES8_S8_S8_S8_S8_S8_EEEEZNS1_11reduce_implILb1ES3_NS6_11hip_rocprim26transform_input_iterator_tIS9_NS6_12zip_iteratorINS7_INS6_17counting_iteratorIiNS6_11use_defaultESG_SG_EENS6_6detail15normal_iteratorINS6_10device_ptrIfEEEES8_S8_S8_S8_S8_S8_S8_S8_EEEE15transform_tupleIifEEEPS9_S9_12reduce_tupleIifEEE10hipError_tPvRmT1_T2_T3_mT4_P12ihipStream_tbEUlT_E1_NS1_11comp_targetILNS1_3genE3ELNS1_11target_archE908ELNS1_3gpuE7ELNS1_3repE0EEENS1_30default_config_static_selectorELNS0_4arch9wavefront6targetE0EEEvSY_.uses_vcc, 0
	.set _ZN7rocprim17ROCPRIM_400000_NS6detail17trampoline_kernelINS0_14default_configENS1_22reduce_config_selectorIN6thrust23THRUST_200600_302600_NS5tupleIbffNS6_9null_typeES8_S8_S8_S8_S8_S8_EEEEZNS1_11reduce_implILb1ES3_NS6_11hip_rocprim26transform_input_iterator_tIS9_NS6_12zip_iteratorINS7_INS6_17counting_iteratorIiNS6_11use_defaultESG_SG_EENS6_6detail15normal_iteratorINS6_10device_ptrIfEEEES8_S8_S8_S8_S8_S8_S8_S8_EEEE15transform_tupleIifEEEPS9_S9_12reduce_tupleIifEEE10hipError_tPvRmT1_T2_T3_mT4_P12ihipStream_tbEUlT_E1_NS1_11comp_targetILNS1_3genE3ELNS1_11target_archE908ELNS1_3gpuE7ELNS1_3repE0EEENS1_30default_config_static_selectorELNS0_4arch9wavefront6targetE0EEEvSY_.uses_flat_scratch, 0
	.set _ZN7rocprim17ROCPRIM_400000_NS6detail17trampoline_kernelINS0_14default_configENS1_22reduce_config_selectorIN6thrust23THRUST_200600_302600_NS5tupleIbffNS6_9null_typeES8_S8_S8_S8_S8_S8_EEEEZNS1_11reduce_implILb1ES3_NS6_11hip_rocprim26transform_input_iterator_tIS9_NS6_12zip_iteratorINS7_INS6_17counting_iteratorIiNS6_11use_defaultESG_SG_EENS6_6detail15normal_iteratorINS6_10device_ptrIfEEEES8_S8_S8_S8_S8_S8_S8_S8_EEEE15transform_tupleIifEEEPS9_S9_12reduce_tupleIifEEE10hipError_tPvRmT1_T2_T3_mT4_P12ihipStream_tbEUlT_E1_NS1_11comp_targetILNS1_3genE3ELNS1_11target_archE908ELNS1_3gpuE7ELNS1_3repE0EEENS1_30default_config_static_selectorELNS0_4arch9wavefront6targetE0EEEvSY_.has_dyn_sized_stack, 0
	.set _ZN7rocprim17ROCPRIM_400000_NS6detail17trampoline_kernelINS0_14default_configENS1_22reduce_config_selectorIN6thrust23THRUST_200600_302600_NS5tupleIbffNS6_9null_typeES8_S8_S8_S8_S8_S8_EEEEZNS1_11reduce_implILb1ES3_NS6_11hip_rocprim26transform_input_iterator_tIS9_NS6_12zip_iteratorINS7_INS6_17counting_iteratorIiNS6_11use_defaultESG_SG_EENS6_6detail15normal_iteratorINS6_10device_ptrIfEEEES8_S8_S8_S8_S8_S8_S8_S8_EEEE15transform_tupleIifEEEPS9_S9_12reduce_tupleIifEEE10hipError_tPvRmT1_T2_T3_mT4_P12ihipStream_tbEUlT_E1_NS1_11comp_targetILNS1_3genE3ELNS1_11target_archE908ELNS1_3gpuE7ELNS1_3repE0EEENS1_30default_config_static_selectorELNS0_4arch9wavefront6targetE0EEEvSY_.has_recursion, 0
	.set _ZN7rocprim17ROCPRIM_400000_NS6detail17trampoline_kernelINS0_14default_configENS1_22reduce_config_selectorIN6thrust23THRUST_200600_302600_NS5tupleIbffNS6_9null_typeES8_S8_S8_S8_S8_S8_EEEEZNS1_11reduce_implILb1ES3_NS6_11hip_rocprim26transform_input_iterator_tIS9_NS6_12zip_iteratorINS7_INS6_17counting_iteratorIiNS6_11use_defaultESG_SG_EENS6_6detail15normal_iteratorINS6_10device_ptrIfEEEES8_S8_S8_S8_S8_S8_S8_S8_EEEE15transform_tupleIifEEEPS9_S9_12reduce_tupleIifEEE10hipError_tPvRmT1_T2_T3_mT4_P12ihipStream_tbEUlT_E1_NS1_11comp_targetILNS1_3genE3ELNS1_11target_archE908ELNS1_3gpuE7ELNS1_3repE0EEENS1_30default_config_static_selectorELNS0_4arch9wavefront6targetE0EEEvSY_.has_indirect_call, 0
	.section	.AMDGPU.csdata,"",@progbits
; Kernel info:
; codeLenInByte = 0
; TotalNumSgprs: 0
; NumVgprs: 0
; ScratchSize: 0
; MemoryBound: 0
; FloatMode: 240
; IeeeMode: 1
; LDSByteSize: 0 bytes/workgroup (compile time only)
; SGPRBlocks: 0
; VGPRBlocks: 0
; NumSGPRsForWavesPerEU: 1
; NumVGPRsForWavesPerEU: 1
; Occupancy: 16
; WaveLimiterHint : 0
; COMPUTE_PGM_RSRC2:SCRATCH_EN: 0
; COMPUTE_PGM_RSRC2:USER_SGPR: 6
; COMPUTE_PGM_RSRC2:TRAP_HANDLER: 0
; COMPUTE_PGM_RSRC2:TGID_X_EN: 1
; COMPUTE_PGM_RSRC2:TGID_Y_EN: 0
; COMPUTE_PGM_RSRC2:TGID_Z_EN: 0
; COMPUTE_PGM_RSRC2:TIDIG_COMP_CNT: 0
	.section	.text._ZN7rocprim17ROCPRIM_400000_NS6detail17trampoline_kernelINS0_14default_configENS1_22reduce_config_selectorIN6thrust23THRUST_200600_302600_NS5tupleIbffNS6_9null_typeES8_S8_S8_S8_S8_S8_EEEEZNS1_11reduce_implILb1ES3_NS6_11hip_rocprim26transform_input_iterator_tIS9_NS6_12zip_iteratorINS7_INS6_17counting_iteratorIiNS6_11use_defaultESG_SG_EENS6_6detail15normal_iteratorINS6_10device_ptrIfEEEES8_S8_S8_S8_S8_S8_S8_S8_EEEE15transform_tupleIifEEEPS9_S9_12reduce_tupleIifEEE10hipError_tPvRmT1_T2_T3_mT4_P12ihipStream_tbEUlT_E1_NS1_11comp_targetILNS1_3genE2ELNS1_11target_archE906ELNS1_3gpuE6ELNS1_3repE0EEENS1_30default_config_static_selectorELNS0_4arch9wavefront6targetE0EEEvSY_,"axG",@progbits,_ZN7rocprim17ROCPRIM_400000_NS6detail17trampoline_kernelINS0_14default_configENS1_22reduce_config_selectorIN6thrust23THRUST_200600_302600_NS5tupleIbffNS6_9null_typeES8_S8_S8_S8_S8_S8_EEEEZNS1_11reduce_implILb1ES3_NS6_11hip_rocprim26transform_input_iterator_tIS9_NS6_12zip_iteratorINS7_INS6_17counting_iteratorIiNS6_11use_defaultESG_SG_EENS6_6detail15normal_iteratorINS6_10device_ptrIfEEEES8_S8_S8_S8_S8_S8_S8_S8_EEEE15transform_tupleIifEEEPS9_S9_12reduce_tupleIifEEE10hipError_tPvRmT1_T2_T3_mT4_P12ihipStream_tbEUlT_E1_NS1_11comp_targetILNS1_3genE2ELNS1_11target_archE906ELNS1_3gpuE6ELNS1_3repE0EEENS1_30default_config_static_selectorELNS0_4arch9wavefront6targetE0EEEvSY_,comdat
	.protected	_ZN7rocprim17ROCPRIM_400000_NS6detail17trampoline_kernelINS0_14default_configENS1_22reduce_config_selectorIN6thrust23THRUST_200600_302600_NS5tupleIbffNS6_9null_typeES8_S8_S8_S8_S8_S8_EEEEZNS1_11reduce_implILb1ES3_NS6_11hip_rocprim26transform_input_iterator_tIS9_NS6_12zip_iteratorINS7_INS6_17counting_iteratorIiNS6_11use_defaultESG_SG_EENS6_6detail15normal_iteratorINS6_10device_ptrIfEEEES8_S8_S8_S8_S8_S8_S8_S8_EEEE15transform_tupleIifEEEPS9_S9_12reduce_tupleIifEEE10hipError_tPvRmT1_T2_T3_mT4_P12ihipStream_tbEUlT_E1_NS1_11comp_targetILNS1_3genE2ELNS1_11target_archE906ELNS1_3gpuE6ELNS1_3repE0EEENS1_30default_config_static_selectorELNS0_4arch9wavefront6targetE0EEEvSY_ ; -- Begin function _ZN7rocprim17ROCPRIM_400000_NS6detail17trampoline_kernelINS0_14default_configENS1_22reduce_config_selectorIN6thrust23THRUST_200600_302600_NS5tupleIbffNS6_9null_typeES8_S8_S8_S8_S8_S8_EEEEZNS1_11reduce_implILb1ES3_NS6_11hip_rocprim26transform_input_iterator_tIS9_NS6_12zip_iteratorINS7_INS6_17counting_iteratorIiNS6_11use_defaultESG_SG_EENS6_6detail15normal_iteratorINS6_10device_ptrIfEEEES8_S8_S8_S8_S8_S8_S8_S8_EEEE15transform_tupleIifEEEPS9_S9_12reduce_tupleIifEEE10hipError_tPvRmT1_T2_T3_mT4_P12ihipStream_tbEUlT_E1_NS1_11comp_targetILNS1_3genE2ELNS1_11target_archE906ELNS1_3gpuE6ELNS1_3repE0EEENS1_30default_config_static_selectorELNS0_4arch9wavefront6targetE0EEEvSY_
	.globl	_ZN7rocprim17ROCPRIM_400000_NS6detail17trampoline_kernelINS0_14default_configENS1_22reduce_config_selectorIN6thrust23THRUST_200600_302600_NS5tupleIbffNS6_9null_typeES8_S8_S8_S8_S8_S8_EEEEZNS1_11reduce_implILb1ES3_NS6_11hip_rocprim26transform_input_iterator_tIS9_NS6_12zip_iteratorINS7_INS6_17counting_iteratorIiNS6_11use_defaultESG_SG_EENS6_6detail15normal_iteratorINS6_10device_ptrIfEEEES8_S8_S8_S8_S8_S8_S8_S8_EEEE15transform_tupleIifEEEPS9_S9_12reduce_tupleIifEEE10hipError_tPvRmT1_T2_T3_mT4_P12ihipStream_tbEUlT_E1_NS1_11comp_targetILNS1_3genE2ELNS1_11target_archE906ELNS1_3gpuE6ELNS1_3repE0EEENS1_30default_config_static_selectorELNS0_4arch9wavefront6targetE0EEEvSY_
	.p2align	8
	.type	_ZN7rocprim17ROCPRIM_400000_NS6detail17trampoline_kernelINS0_14default_configENS1_22reduce_config_selectorIN6thrust23THRUST_200600_302600_NS5tupleIbffNS6_9null_typeES8_S8_S8_S8_S8_S8_EEEEZNS1_11reduce_implILb1ES3_NS6_11hip_rocprim26transform_input_iterator_tIS9_NS6_12zip_iteratorINS7_INS6_17counting_iteratorIiNS6_11use_defaultESG_SG_EENS6_6detail15normal_iteratorINS6_10device_ptrIfEEEES8_S8_S8_S8_S8_S8_S8_S8_EEEE15transform_tupleIifEEEPS9_S9_12reduce_tupleIifEEE10hipError_tPvRmT1_T2_T3_mT4_P12ihipStream_tbEUlT_E1_NS1_11comp_targetILNS1_3genE2ELNS1_11target_archE906ELNS1_3gpuE6ELNS1_3repE0EEENS1_30default_config_static_selectorELNS0_4arch9wavefront6targetE0EEEvSY_,@function
_ZN7rocprim17ROCPRIM_400000_NS6detail17trampoline_kernelINS0_14default_configENS1_22reduce_config_selectorIN6thrust23THRUST_200600_302600_NS5tupleIbffNS6_9null_typeES8_S8_S8_S8_S8_S8_EEEEZNS1_11reduce_implILb1ES3_NS6_11hip_rocprim26transform_input_iterator_tIS9_NS6_12zip_iteratorINS7_INS6_17counting_iteratorIiNS6_11use_defaultESG_SG_EENS6_6detail15normal_iteratorINS6_10device_ptrIfEEEES8_S8_S8_S8_S8_S8_S8_S8_EEEE15transform_tupleIifEEEPS9_S9_12reduce_tupleIifEEE10hipError_tPvRmT1_T2_T3_mT4_P12ihipStream_tbEUlT_E1_NS1_11comp_targetILNS1_3genE2ELNS1_11target_archE906ELNS1_3gpuE6ELNS1_3repE0EEENS1_30default_config_static_selectorELNS0_4arch9wavefront6targetE0EEEvSY_: ; @_ZN7rocprim17ROCPRIM_400000_NS6detail17trampoline_kernelINS0_14default_configENS1_22reduce_config_selectorIN6thrust23THRUST_200600_302600_NS5tupleIbffNS6_9null_typeES8_S8_S8_S8_S8_S8_EEEEZNS1_11reduce_implILb1ES3_NS6_11hip_rocprim26transform_input_iterator_tIS9_NS6_12zip_iteratorINS7_INS6_17counting_iteratorIiNS6_11use_defaultESG_SG_EENS6_6detail15normal_iteratorINS6_10device_ptrIfEEEES8_S8_S8_S8_S8_S8_S8_S8_EEEE15transform_tupleIifEEEPS9_S9_12reduce_tupleIifEEE10hipError_tPvRmT1_T2_T3_mT4_P12ihipStream_tbEUlT_E1_NS1_11comp_targetILNS1_3genE2ELNS1_11target_archE906ELNS1_3gpuE6ELNS1_3repE0EEENS1_30default_config_static_selectorELNS0_4arch9wavefront6targetE0EEEvSY_
; %bb.0:
	.section	.rodata,"a",@progbits
	.p2align	6, 0x0
	.amdhsa_kernel _ZN7rocprim17ROCPRIM_400000_NS6detail17trampoline_kernelINS0_14default_configENS1_22reduce_config_selectorIN6thrust23THRUST_200600_302600_NS5tupleIbffNS6_9null_typeES8_S8_S8_S8_S8_S8_EEEEZNS1_11reduce_implILb1ES3_NS6_11hip_rocprim26transform_input_iterator_tIS9_NS6_12zip_iteratorINS7_INS6_17counting_iteratorIiNS6_11use_defaultESG_SG_EENS6_6detail15normal_iteratorINS6_10device_ptrIfEEEES8_S8_S8_S8_S8_S8_S8_S8_EEEE15transform_tupleIifEEEPS9_S9_12reduce_tupleIifEEE10hipError_tPvRmT1_T2_T3_mT4_P12ihipStream_tbEUlT_E1_NS1_11comp_targetILNS1_3genE2ELNS1_11target_archE906ELNS1_3gpuE6ELNS1_3repE0EEENS1_30default_config_static_selectorELNS0_4arch9wavefront6targetE0EEEvSY_
		.amdhsa_group_segment_fixed_size 0
		.amdhsa_private_segment_fixed_size 0
		.amdhsa_kernarg_size 64
		.amdhsa_user_sgpr_count 6
		.amdhsa_user_sgpr_private_segment_buffer 1
		.amdhsa_user_sgpr_dispatch_ptr 0
		.amdhsa_user_sgpr_queue_ptr 0
		.amdhsa_user_sgpr_kernarg_segment_ptr 1
		.amdhsa_user_sgpr_dispatch_id 0
		.amdhsa_user_sgpr_flat_scratch_init 0
		.amdhsa_user_sgpr_private_segment_size 0
		.amdhsa_wavefront_size32 1
		.amdhsa_uses_dynamic_stack 0
		.amdhsa_system_sgpr_private_segment_wavefront_offset 0
		.amdhsa_system_sgpr_workgroup_id_x 1
		.amdhsa_system_sgpr_workgroup_id_y 0
		.amdhsa_system_sgpr_workgroup_id_z 0
		.amdhsa_system_sgpr_workgroup_info 0
		.amdhsa_system_vgpr_workitem_id 0
		.amdhsa_next_free_vgpr 1
		.amdhsa_next_free_sgpr 1
		.amdhsa_reserve_vcc 0
		.amdhsa_reserve_flat_scratch 0
		.amdhsa_float_round_mode_32 0
		.amdhsa_float_round_mode_16_64 0
		.amdhsa_float_denorm_mode_32 3
		.amdhsa_float_denorm_mode_16_64 3
		.amdhsa_dx10_clamp 1
		.amdhsa_ieee_mode 1
		.amdhsa_fp16_overflow 0
		.amdhsa_workgroup_processor_mode 1
		.amdhsa_memory_ordered 1
		.amdhsa_forward_progress 1
		.amdhsa_shared_vgpr_count 0
		.amdhsa_exception_fp_ieee_invalid_op 0
		.amdhsa_exception_fp_denorm_src 0
		.amdhsa_exception_fp_ieee_div_zero 0
		.amdhsa_exception_fp_ieee_overflow 0
		.amdhsa_exception_fp_ieee_underflow 0
		.amdhsa_exception_fp_ieee_inexact 0
		.amdhsa_exception_int_div_zero 0
	.end_amdhsa_kernel
	.section	.text._ZN7rocprim17ROCPRIM_400000_NS6detail17trampoline_kernelINS0_14default_configENS1_22reduce_config_selectorIN6thrust23THRUST_200600_302600_NS5tupleIbffNS6_9null_typeES8_S8_S8_S8_S8_S8_EEEEZNS1_11reduce_implILb1ES3_NS6_11hip_rocprim26transform_input_iterator_tIS9_NS6_12zip_iteratorINS7_INS6_17counting_iteratorIiNS6_11use_defaultESG_SG_EENS6_6detail15normal_iteratorINS6_10device_ptrIfEEEES8_S8_S8_S8_S8_S8_S8_S8_EEEE15transform_tupleIifEEEPS9_S9_12reduce_tupleIifEEE10hipError_tPvRmT1_T2_T3_mT4_P12ihipStream_tbEUlT_E1_NS1_11comp_targetILNS1_3genE2ELNS1_11target_archE906ELNS1_3gpuE6ELNS1_3repE0EEENS1_30default_config_static_selectorELNS0_4arch9wavefront6targetE0EEEvSY_,"axG",@progbits,_ZN7rocprim17ROCPRIM_400000_NS6detail17trampoline_kernelINS0_14default_configENS1_22reduce_config_selectorIN6thrust23THRUST_200600_302600_NS5tupleIbffNS6_9null_typeES8_S8_S8_S8_S8_S8_EEEEZNS1_11reduce_implILb1ES3_NS6_11hip_rocprim26transform_input_iterator_tIS9_NS6_12zip_iteratorINS7_INS6_17counting_iteratorIiNS6_11use_defaultESG_SG_EENS6_6detail15normal_iteratorINS6_10device_ptrIfEEEES8_S8_S8_S8_S8_S8_S8_S8_EEEE15transform_tupleIifEEEPS9_S9_12reduce_tupleIifEEE10hipError_tPvRmT1_T2_T3_mT4_P12ihipStream_tbEUlT_E1_NS1_11comp_targetILNS1_3genE2ELNS1_11target_archE906ELNS1_3gpuE6ELNS1_3repE0EEENS1_30default_config_static_selectorELNS0_4arch9wavefront6targetE0EEEvSY_,comdat
.Lfunc_end32:
	.size	_ZN7rocprim17ROCPRIM_400000_NS6detail17trampoline_kernelINS0_14default_configENS1_22reduce_config_selectorIN6thrust23THRUST_200600_302600_NS5tupleIbffNS6_9null_typeES8_S8_S8_S8_S8_S8_EEEEZNS1_11reduce_implILb1ES3_NS6_11hip_rocprim26transform_input_iterator_tIS9_NS6_12zip_iteratorINS7_INS6_17counting_iteratorIiNS6_11use_defaultESG_SG_EENS6_6detail15normal_iteratorINS6_10device_ptrIfEEEES8_S8_S8_S8_S8_S8_S8_S8_EEEE15transform_tupleIifEEEPS9_S9_12reduce_tupleIifEEE10hipError_tPvRmT1_T2_T3_mT4_P12ihipStream_tbEUlT_E1_NS1_11comp_targetILNS1_3genE2ELNS1_11target_archE906ELNS1_3gpuE6ELNS1_3repE0EEENS1_30default_config_static_selectorELNS0_4arch9wavefront6targetE0EEEvSY_, .Lfunc_end32-_ZN7rocprim17ROCPRIM_400000_NS6detail17trampoline_kernelINS0_14default_configENS1_22reduce_config_selectorIN6thrust23THRUST_200600_302600_NS5tupleIbffNS6_9null_typeES8_S8_S8_S8_S8_S8_EEEEZNS1_11reduce_implILb1ES3_NS6_11hip_rocprim26transform_input_iterator_tIS9_NS6_12zip_iteratorINS7_INS6_17counting_iteratorIiNS6_11use_defaultESG_SG_EENS6_6detail15normal_iteratorINS6_10device_ptrIfEEEES8_S8_S8_S8_S8_S8_S8_S8_EEEE15transform_tupleIifEEEPS9_S9_12reduce_tupleIifEEE10hipError_tPvRmT1_T2_T3_mT4_P12ihipStream_tbEUlT_E1_NS1_11comp_targetILNS1_3genE2ELNS1_11target_archE906ELNS1_3gpuE6ELNS1_3repE0EEENS1_30default_config_static_selectorELNS0_4arch9wavefront6targetE0EEEvSY_
                                        ; -- End function
	.set _ZN7rocprim17ROCPRIM_400000_NS6detail17trampoline_kernelINS0_14default_configENS1_22reduce_config_selectorIN6thrust23THRUST_200600_302600_NS5tupleIbffNS6_9null_typeES8_S8_S8_S8_S8_S8_EEEEZNS1_11reduce_implILb1ES3_NS6_11hip_rocprim26transform_input_iterator_tIS9_NS6_12zip_iteratorINS7_INS6_17counting_iteratorIiNS6_11use_defaultESG_SG_EENS6_6detail15normal_iteratorINS6_10device_ptrIfEEEES8_S8_S8_S8_S8_S8_S8_S8_EEEE15transform_tupleIifEEEPS9_S9_12reduce_tupleIifEEE10hipError_tPvRmT1_T2_T3_mT4_P12ihipStream_tbEUlT_E1_NS1_11comp_targetILNS1_3genE2ELNS1_11target_archE906ELNS1_3gpuE6ELNS1_3repE0EEENS1_30default_config_static_selectorELNS0_4arch9wavefront6targetE0EEEvSY_.num_vgpr, 0
	.set _ZN7rocprim17ROCPRIM_400000_NS6detail17trampoline_kernelINS0_14default_configENS1_22reduce_config_selectorIN6thrust23THRUST_200600_302600_NS5tupleIbffNS6_9null_typeES8_S8_S8_S8_S8_S8_EEEEZNS1_11reduce_implILb1ES3_NS6_11hip_rocprim26transform_input_iterator_tIS9_NS6_12zip_iteratorINS7_INS6_17counting_iteratorIiNS6_11use_defaultESG_SG_EENS6_6detail15normal_iteratorINS6_10device_ptrIfEEEES8_S8_S8_S8_S8_S8_S8_S8_EEEE15transform_tupleIifEEEPS9_S9_12reduce_tupleIifEEE10hipError_tPvRmT1_T2_T3_mT4_P12ihipStream_tbEUlT_E1_NS1_11comp_targetILNS1_3genE2ELNS1_11target_archE906ELNS1_3gpuE6ELNS1_3repE0EEENS1_30default_config_static_selectorELNS0_4arch9wavefront6targetE0EEEvSY_.num_agpr, 0
	.set _ZN7rocprim17ROCPRIM_400000_NS6detail17trampoline_kernelINS0_14default_configENS1_22reduce_config_selectorIN6thrust23THRUST_200600_302600_NS5tupleIbffNS6_9null_typeES8_S8_S8_S8_S8_S8_EEEEZNS1_11reduce_implILb1ES3_NS6_11hip_rocprim26transform_input_iterator_tIS9_NS6_12zip_iteratorINS7_INS6_17counting_iteratorIiNS6_11use_defaultESG_SG_EENS6_6detail15normal_iteratorINS6_10device_ptrIfEEEES8_S8_S8_S8_S8_S8_S8_S8_EEEE15transform_tupleIifEEEPS9_S9_12reduce_tupleIifEEE10hipError_tPvRmT1_T2_T3_mT4_P12ihipStream_tbEUlT_E1_NS1_11comp_targetILNS1_3genE2ELNS1_11target_archE906ELNS1_3gpuE6ELNS1_3repE0EEENS1_30default_config_static_selectorELNS0_4arch9wavefront6targetE0EEEvSY_.numbered_sgpr, 0
	.set _ZN7rocprim17ROCPRIM_400000_NS6detail17trampoline_kernelINS0_14default_configENS1_22reduce_config_selectorIN6thrust23THRUST_200600_302600_NS5tupleIbffNS6_9null_typeES8_S8_S8_S8_S8_S8_EEEEZNS1_11reduce_implILb1ES3_NS6_11hip_rocprim26transform_input_iterator_tIS9_NS6_12zip_iteratorINS7_INS6_17counting_iteratorIiNS6_11use_defaultESG_SG_EENS6_6detail15normal_iteratorINS6_10device_ptrIfEEEES8_S8_S8_S8_S8_S8_S8_S8_EEEE15transform_tupleIifEEEPS9_S9_12reduce_tupleIifEEE10hipError_tPvRmT1_T2_T3_mT4_P12ihipStream_tbEUlT_E1_NS1_11comp_targetILNS1_3genE2ELNS1_11target_archE906ELNS1_3gpuE6ELNS1_3repE0EEENS1_30default_config_static_selectorELNS0_4arch9wavefront6targetE0EEEvSY_.num_named_barrier, 0
	.set _ZN7rocprim17ROCPRIM_400000_NS6detail17trampoline_kernelINS0_14default_configENS1_22reduce_config_selectorIN6thrust23THRUST_200600_302600_NS5tupleIbffNS6_9null_typeES8_S8_S8_S8_S8_S8_EEEEZNS1_11reduce_implILb1ES3_NS6_11hip_rocprim26transform_input_iterator_tIS9_NS6_12zip_iteratorINS7_INS6_17counting_iteratorIiNS6_11use_defaultESG_SG_EENS6_6detail15normal_iteratorINS6_10device_ptrIfEEEES8_S8_S8_S8_S8_S8_S8_S8_EEEE15transform_tupleIifEEEPS9_S9_12reduce_tupleIifEEE10hipError_tPvRmT1_T2_T3_mT4_P12ihipStream_tbEUlT_E1_NS1_11comp_targetILNS1_3genE2ELNS1_11target_archE906ELNS1_3gpuE6ELNS1_3repE0EEENS1_30default_config_static_selectorELNS0_4arch9wavefront6targetE0EEEvSY_.private_seg_size, 0
	.set _ZN7rocprim17ROCPRIM_400000_NS6detail17trampoline_kernelINS0_14default_configENS1_22reduce_config_selectorIN6thrust23THRUST_200600_302600_NS5tupleIbffNS6_9null_typeES8_S8_S8_S8_S8_S8_EEEEZNS1_11reduce_implILb1ES3_NS6_11hip_rocprim26transform_input_iterator_tIS9_NS6_12zip_iteratorINS7_INS6_17counting_iteratorIiNS6_11use_defaultESG_SG_EENS6_6detail15normal_iteratorINS6_10device_ptrIfEEEES8_S8_S8_S8_S8_S8_S8_S8_EEEE15transform_tupleIifEEEPS9_S9_12reduce_tupleIifEEE10hipError_tPvRmT1_T2_T3_mT4_P12ihipStream_tbEUlT_E1_NS1_11comp_targetILNS1_3genE2ELNS1_11target_archE906ELNS1_3gpuE6ELNS1_3repE0EEENS1_30default_config_static_selectorELNS0_4arch9wavefront6targetE0EEEvSY_.uses_vcc, 0
	.set _ZN7rocprim17ROCPRIM_400000_NS6detail17trampoline_kernelINS0_14default_configENS1_22reduce_config_selectorIN6thrust23THRUST_200600_302600_NS5tupleIbffNS6_9null_typeES8_S8_S8_S8_S8_S8_EEEEZNS1_11reduce_implILb1ES3_NS6_11hip_rocprim26transform_input_iterator_tIS9_NS6_12zip_iteratorINS7_INS6_17counting_iteratorIiNS6_11use_defaultESG_SG_EENS6_6detail15normal_iteratorINS6_10device_ptrIfEEEES8_S8_S8_S8_S8_S8_S8_S8_EEEE15transform_tupleIifEEEPS9_S9_12reduce_tupleIifEEE10hipError_tPvRmT1_T2_T3_mT4_P12ihipStream_tbEUlT_E1_NS1_11comp_targetILNS1_3genE2ELNS1_11target_archE906ELNS1_3gpuE6ELNS1_3repE0EEENS1_30default_config_static_selectorELNS0_4arch9wavefront6targetE0EEEvSY_.uses_flat_scratch, 0
	.set _ZN7rocprim17ROCPRIM_400000_NS6detail17trampoline_kernelINS0_14default_configENS1_22reduce_config_selectorIN6thrust23THRUST_200600_302600_NS5tupleIbffNS6_9null_typeES8_S8_S8_S8_S8_S8_EEEEZNS1_11reduce_implILb1ES3_NS6_11hip_rocprim26transform_input_iterator_tIS9_NS6_12zip_iteratorINS7_INS6_17counting_iteratorIiNS6_11use_defaultESG_SG_EENS6_6detail15normal_iteratorINS6_10device_ptrIfEEEES8_S8_S8_S8_S8_S8_S8_S8_EEEE15transform_tupleIifEEEPS9_S9_12reduce_tupleIifEEE10hipError_tPvRmT1_T2_T3_mT4_P12ihipStream_tbEUlT_E1_NS1_11comp_targetILNS1_3genE2ELNS1_11target_archE906ELNS1_3gpuE6ELNS1_3repE0EEENS1_30default_config_static_selectorELNS0_4arch9wavefront6targetE0EEEvSY_.has_dyn_sized_stack, 0
	.set _ZN7rocprim17ROCPRIM_400000_NS6detail17trampoline_kernelINS0_14default_configENS1_22reduce_config_selectorIN6thrust23THRUST_200600_302600_NS5tupleIbffNS6_9null_typeES8_S8_S8_S8_S8_S8_EEEEZNS1_11reduce_implILb1ES3_NS6_11hip_rocprim26transform_input_iterator_tIS9_NS6_12zip_iteratorINS7_INS6_17counting_iteratorIiNS6_11use_defaultESG_SG_EENS6_6detail15normal_iteratorINS6_10device_ptrIfEEEES8_S8_S8_S8_S8_S8_S8_S8_EEEE15transform_tupleIifEEEPS9_S9_12reduce_tupleIifEEE10hipError_tPvRmT1_T2_T3_mT4_P12ihipStream_tbEUlT_E1_NS1_11comp_targetILNS1_3genE2ELNS1_11target_archE906ELNS1_3gpuE6ELNS1_3repE0EEENS1_30default_config_static_selectorELNS0_4arch9wavefront6targetE0EEEvSY_.has_recursion, 0
	.set _ZN7rocprim17ROCPRIM_400000_NS6detail17trampoline_kernelINS0_14default_configENS1_22reduce_config_selectorIN6thrust23THRUST_200600_302600_NS5tupleIbffNS6_9null_typeES8_S8_S8_S8_S8_S8_EEEEZNS1_11reduce_implILb1ES3_NS6_11hip_rocprim26transform_input_iterator_tIS9_NS6_12zip_iteratorINS7_INS6_17counting_iteratorIiNS6_11use_defaultESG_SG_EENS6_6detail15normal_iteratorINS6_10device_ptrIfEEEES8_S8_S8_S8_S8_S8_S8_S8_EEEE15transform_tupleIifEEEPS9_S9_12reduce_tupleIifEEE10hipError_tPvRmT1_T2_T3_mT4_P12ihipStream_tbEUlT_E1_NS1_11comp_targetILNS1_3genE2ELNS1_11target_archE906ELNS1_3gpuE6ELNS1_3repE0EEENS1_30default_config_static_selectorELNS0_4arch9wavefront6targetE0EEEvSY_.has_indirect_call, 0
	.section	.AMDGPU.csdata,"",@progbits
; Kernel info:
; codeLenInByte = 0
; TotalNumSgprs: 0
; NumVgprs: 0
; ScratchSize: 0
; MemoryBound: 0
; FloatMode: 240
; IeeeMode: 1
; LDSByteSize: 0 bytes/workgroup (compile time only)
; SGPRBlocks: 0
; VGPRBlocks: 0
; NumSGPRsForWavesPerEU: 1
; NumVGPRsForWavesPerEU: 1
; Occupancy: 16
; WaveLimiterHint : 0
; COMPUTE_PGM_RSRC2:SCRATCH_EN: 0
; COMPUTE_PGM_RSRC2:USER_SGPR: 6
; COMPUTE_PGM_RSRC2:TRAP_HANDLER: 0
; COMPUTE_PGM_RSRC2:TGID_X_EN: 1
; COMPUTE_PGM_RSRC2:TGID_Y_EN: 0
; COMPUTE_PGM_RSRC2:TGID_Z_EN: 0
; COMPUTE_PGM_RSRC2:TIDIG_COMP_CNT: 0
	.section	.text._ZN7rocprim17ROCPRIM_400000_NS6detail17trampoline_kernelINS0_14default_configENS1_22reduce_config_selectorIN6thrust23THRUST_200600_302600_NS5tupleIbffNS6_9null_typeES8_S8_S8_S8_S8_S8_EEEEZNS1_11reduce_implILb1ES3_NS6_11hip_rocprim26transform_input_iterator_tIS9_NS6_12zip_iteratorINS7_INS6_17counting_iteratorIiNS6_11use_defaultESG_SG_EENS6_6detail15normal_iteratorINS6_10device_ptrIfEEEES8_S8_S8_S8_S8_S8_S8_S8_EEEE15transform_tupleIifEEEPS9_S9_12reduce_tupleIifEEE10hipError_tPvRmT1_T2_T3_mT4_P12ihipStream_tbEUlT_E1_NS1_11comp_targetILNS1_3genE10ELNS1_11target_archE1201ELNS1_3gpuE5ELNS1_3repE0EEENS1_30default_config_static_selectorELNS0_4arch9wavefront6targetE0EEEvSY_,"axG",@progbits,_ZN7rocprim17ROCPRIM_400000_NS6detail17trampoline_kernelINS0_14default_configENS1_22reduce_config_selectorIN6thrust23THRUST_200600_302600_NS5tupleIbffNS6_9null_typeES8_S8_S8_S8_S8_S8_EEEEZNS1_11reduce_implILb1ES3_NS6_11hip_rocprim26transform_input_iterator_tIS9_NS6_12zip_iteratorINS7_INS6_17counting_iteratorIiNS6_11use_defaultESG_SG_EENS6_6detail15normal_iteratorINS6_10device_ptrIfEEEES8_S8_S8_S8_S8_S8_S8_S8_EEEE15transform_tupleIifEEEPS9_S9_12reduce_tupleIifEEE10hipError_tPvRmT1_T2_T3_mT4_P12ihipStream_tbEUlT_E1_NS1_11comp_targetILNS1_3genE10ELNS1_11target_archE1201ELNS1_3gpuE5ELNS1_3repE0EEENS1_30default_config_static_selectorELNS0_4arch9wavefront6targetE0EEEvSY_,comdat
	.protected	_ZN7rocprim17ROCPRIM_400000_NS6detail17trampoline_kernelINS0_14default_configENS1_22reduce_config_selectorIN6thrust23THRUST_200600_302600_NS5tupleIbffNS6_9null_typeES8_S8_S8_S8_S8_S8_EEEEZNS1_11reduce_implILb1ES3_NS6_11hip_rocprim26transform_input_iterator_tIS9_NS6_12zip_iteratorINS7_INS6_17counting_iteratorIiNS6_11use_defaultESG_SG_EENS6_6detail15normal_iteratorINS6_10device_ptrIfEEEES8_S8_S8_S8_S8_S8_S8_S8_EEEE15transform_tupleIifEEEPS9_S9_12reduce_tupleIifEEE10hipError_tPvRmT1_T2_T3_mT4_P12ihipStream_tbEUlT_E1_NS1_11comp_targetILNS1_3genE10ELNS1_11target_archE1201ELNS1_3gpuE5ELNS1_3repE0EEENS1_30default_config_static_selectorELNS0_4arch9wavefront6targetE0EEEvSY_ ; -- Begin function _ZN7rocprim17ROCPRIM_400000_NS6detail17trampoline_kernelINS0_14default_configENS1_22reduce_config_selectorIN6thrust23THRUST_200600_302600_NS5tupleIbffNS6_9null_typeES8_S8_S8_S8_S8_S8_EEEEZNS1_11reduce_implILb1ES3_NS6_11hip_rocprim26transform_input_iterator_tIS9_NS6_12zip_iteratorINS7_INS6_17counting_iteratorIiNS6_11use_defaultESG_SG_EENS6_6detail15normal_iteratorINS6_10device_ptrIfEEEES8_S8_S8_S8_S8_S8_S8_S8_EEEE15transform_tupleIifEEEPS9_S9_12reduce_tupleIifEEE10hipError_tPvRmT1_T2_T3_mT4_P12ihipStream_tbEUlT_E1_NS1_11comp_targetILNS1_3genE10ELNS1_11target_archE1201ELNS1_3gpuE5ELNS1_3repE0EEENS1_30default_config_static_selectorELNS0_4arch9wavefront6targetE0EEEvSY_
	.globl	_ZN7rocprim17ROCPRIM_400000_NS6detail17trampoline_kernelINS0_14default_configENS1_22reduce_config_selectorIN6thrust23THRUST_200600_302600_NS5tupleIbffNS6_9null_typeES8_S8_S8_S8_S8_S8_EEEEZNS1_11reduce_implILb1ES3_NS6_11hip_rocprim26transform_input_iterator_tIS9_NS6_12zip_iteratorINS7_INS6_17counting_iteratorIiNS6_11use_defaultESG_SG_EENS6_6detail15normal_iteratorINS6_10device_ptrIfEEEES8_S8_S8_S8_S8_S8_S8_S8_EEEE15transform_tupleIifEEEPS9_S9_12reduce_tupleIifEEE10hipError_tPvRmT1_T2_T3_mT4_P12ihipStream_tbEUlT_E1_NS1_11comp_targetILNS1_3genE10ELNS1_11target_archE1201ELNS1_3gpuE5ELNS1_3repE0EEENS1_30default_config_static_selectorELNS0_4arch9wavefront6targetE0EEEvSY_
	.p2align	8
	.type	_ZN7rocprim17ROCPRIM_400000_NS6detail17trampoline_kernelINS0_14default_configENS1_22reduce_config_selectorIN6thrust23THRUST_200600_302600_NS5tupleIbffNS6_9null_typeES8_S8_S8_S8_S8_S8_EEEEZNS1_11reduce_implILb1ES3_NS6_11hip_rocprim26transform_input_iterator_tIS9_NS6_12zip_iteratorINS7_INS6_17counting_iteratorIiNS6_11use_defaultESG_SG_EENS6_6detail15normal_iteratorINS6_10device_ptrIfEEEES8_S8_S8_S8_S8_S8_S8_S8_EEEE15transform_tupleIifEEEPS9_S9_12reduce_tupleIifEEE10hipError_tPvRmT1_T2_T3_mT4_P12ihipStream_tbEUlT_E1_NS1_11comp_targetILNS1_3genE10ELNS1_11target_archE1201ELNS1_3gpuE5ELNS1_3repE0EEENS1_30default_config_static_selectorELNS0_4arch9wavefront6targetE0EEEvSY_,@function
_ZN7rocprim17ROCPRIM_400000_NS6detail17trampoline_kernelINS0_14default_configENS1_22reduce_config_selectorIN6thrust23THRUST_200600_302600_NS5tupleIbffNS6_9null_typeES8_S8_S8_S8_S8_S8_EEEEZNS1_11reduce_implILb1ES3_NS6_11hip_rocprim26transform_input_iterator_tIS9_NS6_12zip_iteratorINS7_INS6_17counting_iteratorIiNS6_11use_defaultESG_SG_EENS6_6detail15normal_iteratorINS6_10device_ptrIfEEEES8_S8_S8_S8_S8_S8_S8_S8_EEEE15transform_tupleIifEEEPS9_S9_12reduce_tupleIifEEE10hipError_tPvRmT1_T2_T3_mT4_P12ihipStream_tbEUlT_E1_NS1_11comp_targetILNS1_3genE10ELNS1_11target_archE1201ELNS1_3gpuE5ELNS1_3repE0EEENS1_30default_config_static_selectorELNS0_4arch9wavefront6targetE0EEEvSY_: ; @_ZN7rocprim17ROCPRIM_400000_NS6detail17trampoline_kernelINS0_14default_configENS1_22reduce_config_selectorIN6thrust23THRUST_200600_302600_NS5tupleIbffNS6_9null_typeES8_S8_S8_S8_S8_S8_EEEEZNS1_11reduce_implILb1ES3_NS6_11hip_rocprim26transform_input_iterator_tIS9_NS6_12zip_iteratorINS7_INS6_17counting_iteratorIiNS6_11use_defaultESG_SG_EENS6_6detail15normal_iteratorINS6_10device_ptrIfEEEES8_S8_S8_S8_S8_S8_S8_S8_EEEE15transform_tupleIifEEEPS9_S9_12reduce_tupleIifEEE10hipError_tPvRmT1_T2_T3_mT4_P12ihipStream_tbEUlT_E1_NS1_11comp_targetILNS1_3genE10ELNS1_11target_archE1201ELNS1_3gpuE5ELNS1_3repE0EEENS1_30default_config_static_selectorELNS0_4arch9wavefront6targetE0EEEvSY_
; %bb.0:
	.section	.rodata,"a",@progbits
	.p2align	6, 0x0
	.amdhsa_kernel _ZN7rocprim17ROCPRIM_400000_NS6detail17trampoline_kernelINS0_14default_configENS1_22reduce_config_selectorIN6thrust23THRUST_200600_302600_NS5tupleIbffNS6_9null_typeES8_S8_S8_S8_S8_S8_EEEEZNS1_11reduce_implILb1ES3_NS6_11hip_rocprim26transform_input_iterator_tIS9_NS6_12zip_iteratorINS7_INS6_17counting_iteratorIiNS6_11use_defaultESG_SG_EENS6_6detail15normal_iteratorINS6_10device_ptrIfEEEES8_S8_S8_S8_S8_S8_S8_S8_EEEE15transform_tupleIifEEEPS9_S9_12reduce_tupleIifEEE10hipError_tPvRmT1_T2_T3_mT4_P12ihipStream_tbEUlT_E1_NS1_11comp_targetILNS1_3genE10ELNS1_11target_archE1201ELNS1_3gpuE5ELNS1_3repE0EEENS1_30default_config_static_selectorELNS0_4arch9wavefront6targetE0EEEvSY_
		.amdhsa_group_segment_fixed_size 0
		.amdhsa_private_segment_fixed_size 0
		.amdhsa_kernarg_size 64
		.amdhsa_user_sgpr_count 6
		.amdhsa_user_sgpr_private_segment_buffer 1
		.amdhsa_user_sgpr_dispatch_ptr 0
		.amdhsa_user_sgpr_queue_ptr 0
		.amdhsa_user_sgpr_kernarg_segment_ptr 1
		.amdhsa_user_sgpr_dispatch_id 0
		.amdhsa_user_sgpr_flat_scratch_init 0
		.amdhsa_user_sgpr_private_segment_size 0
		.amdhsa_wavefront_size32 1
		.amdhsa_uses_dynamic_stack 0
		.amdhsa_system_sgpr_private_segment_wavefront_offset 0
		.amdhsa_system_sgpr_workgroup_id_x 1
		.amdhsa_system_sgpr_workgroup_id_y 0
		.amdhsa_system_sgpr_workgroup_id_z 0
		.amdhsa_system_sgpr_workgroup_info 0
		.amdhsa_system_vgpr_workitem_id 0
		.amdhsa_next_free_vgpr 1
		.amdhsa_next_free_sgpr 1
		.amdhsa_reserve_vcc 0
		.amdhsa_reserve_flat_scratch 0
		.amdhsa_float_round_mode_32 0
		.amdhsa_float_round_mode_16_64 0
		.amdhsa_float_denorm_mode_32 3
		.amdhsa_float_denorm_mode_16_64 3
		.amdhsa_dx10_clamp 1
		.amdhsa_ieee_mode 1
		.amdhsa_fp16_overflow 0
		.amdhsa_workgroup_processor_mode 1
		.amdhsa_memory_ordered 1
		.amdhsa_forward_progress 1
		.amdhsa_shared_vgpr_count 0
		.amdhsa_exception_fp_ieee_invalid_op 0
		.amdhsa_exception_fp_denorm_src 0
		.amdhsa_exception_fp_ieee_div_zero 0
		.amdhsa_exception_fp_ieee_overflow 0
		.amdhsa_exception_fp_ieee_underflow 0
		.amdhsa_exception_fp_ieee_inexact 0
		.amdhsa_exception_int_div_zero 0
	.end_amdhsa_kernel
	.section	.text._ZN7rocprim17ROCPRIM_400000_NS6detail17trampoline_kernelINS0_14default_configENS1_22reduce_config_selectorIN6thrust23THRUST_200600_302600_NS5tupleIbffNS6_9null_typeES8_S8_S8_S8_S8_S8_EEEEZNS1_11reduce_implILb1ES3_NS6_11hip_rocprim26transform_input_iterator_tIS9_NS6_12zip_iteratorINS7_INS6_17counting_iteratorIiNS6_11use_defaultESG_SG_EENS6_6detail15normal_iteratorINS6_10device_ptrIfEEEES8_S8_S8_S8_S8_S8_S8_S8_EEEE15transform_tupleIifEEEPS9_S9_12reduce_tupleIifEEE10hipError_tPvRmT1_T2_T3_mT4_P12ihipStream_tbEUlT_E1_NS1_11comp_targetILNS1_3genE10ELNS1_11target_archE1201ELNS1_3gpuE5ELNS1_3repE0EEENS1_30default_config_static_selectorELNS0_4arch9wavefront6targetE0EEEvSY_,"axG",@progbits,_ZN7rocprim17ROCPRIM_400000_NS6detail17trampoline_kernelINS0_14default_configENS1_22reduce_config_selectorIN6thrust23THRUST_200600_302600_NS5tupleIbffNS6_9null_typeES8_S8_S8_S8_S8_S8_EEEEZNS1_11reduce_implILb1ES3_NS6_11hip_rocprim26transform_input_iterator_tIS9_NS6_12zip_iteratorINS7_INS6_17counting_iteratorIiNS6_11use_defaultESG_SG_EENS6_6detail15normal_iteratorINS6_10device_ptrIfEEEES8_S8_S8_S8_S8_S8_S8_S8_EEEE15transform_tupleIifEEEPS9_S9_12reduce_tupleIifEEE10hipError_tPvRmT1_T2_T3_mT4_P12ihipStream_tbEUlT_E1_NS1_11comp_targetILNS1_3genE10ELNS1_11target_archE1201ELNS1_3gpuE5ELNS1_3repE0EEENS1_30default_config_static_selectorELNS0_4arch9wavefront6targetE0EEEvSY_,comdat
.Lfunc_end33:
	.size	_ZN7rocprim17ROCPRIM_400000_NS6detail17trampoline_kernelINS0_14default_configENS1_22reduce_config_selectorIN6thrust23THRUST_200600_302600_NS5tupleIbffNS6_9null_typeES8_S8_S8_S8_S8_S8_EEEEZNS1_11reduce_implILb1ES3_NS6_11hip_rocprim26transform_input_iterator_tIS9_NS6_12zip_iteratorINS7_INS6_17counting_iteratorIiNS6_11use_defaultESG_SG_EENS6_6detail15normal_iteratorINS6_10device_ptrIfEEEES8_S8_S8_S8_S8_S8_S8_S8_EEEE15transform_tupleIifEEEPS9_S9_12reduce_tupleIifEEE10hipError_tPvRmT1_T2_T3_mT4_P12ihipStream_tbEUlT_E1_NS1_11comp_targetILNS1_3genE10ELNS1_11target_archE1201ELNS1_3gpuE5ELNS1_3repE0EEENS1_30default_config_static_selectorELNS0_4arch9wavefront6targetE0EEEvSY_, .Lfunc_end33-_ZN7rocprim17ROCPRIM_400000_NS6detail17trampoline_kernelINS0_14default_configENS1_22reduce_config_selectorIN6thrust23THRUST_200600_302600_NS5tupleIbffNS6_9null_typeES8_S8_S8_S8_S8_S8_EEEEZNS1_11reduce_implILb1ES3_NS6_11hip_rocprim26transform_input_iterator_tIS9_NS6_12zip_iteratorINS7_INS6_17counting_iteratorIiNS6_11use_defaultESG_SG_EENS6_6detail15normal_iteratorINS6_10device_ptrIfEEEES8_S8_S8_S8_S8_S8_S8_S8_EEEE15transform_tupleIifEEEPS9_S9_12reduce_tupleIifEEE10hipError_tPvRmT1_T2_T3_mT4_P12ihipStream_tbEUlT_E1_NS1_11comp_targetILNS1_3genE10ELNS1_11target_archE1201ELNS1_3gpuE5ELNS1_3repE0EEENS1_30default_config_static_selectorELNS0_4arch9wavefront6targetE0EEEvSY_
                                        ; -- End function
	.set _ZN7rocprim17ROCPRIM_400000_NS6detail17trampoline_kernelINS0_14default_configENS1_22reduce_config_selectorIN6thrust23THRUST_200600_302600_NS5tupleIbffNS6_9null_typeES8_S8_S8_S8_S8_S8_EEEEZNS1_11reduce_implILb1ES3_NS6_11hip_rocprim26transform_input_iterator_tIS9_NS6_12zip_iteratorINS7_INS6_17counting_iteratorIiNS6_11use_defaultESG_SG_EENS6_6detail15normal_iteratorINS6_10device_ptrIfEEEES8_S8_S8_S8_S8_S8_S8_S8_EEEE15transform_tupleIifEEEPS9_S9_12reduce_tupleIifEEE10hipError_tPvRmT1_T2_T3_mT4_P12ihipStream_tbEUlT_E1_NS1_11comp_targetILNS1_3genE10ELNS1_11target_archE1201ELNS1_3gpuE5ELNS1_3repE0EEENS1_30default_config_static_selectorELNS0_4arch9wavefront6targetE0EEEvSY_.num_vgpr, 0
	.set _ZN7rocprim17ROCPRIM_400000_NS6detail17trampoline_kernelINS0_14default_configENS1_22reduce_config_selectorIN6thrust23THRUST_200600_302600_NS5tupleIbffNS6_9null_typeES8_S8_S8_S8_S8_S8_EEEEZNS1_11reduce_implILb1ES3_NS6_11hip_rocprim26transform_input_iterator_tIS9_NS6_12zip_iteratorINS7_INS6_17counting_iteratorIiNS6_11use_defaultESG_SG_EENS6_6detail15normal_iteratorINS6_10device_ptrIfEEEES8_S8_S8_S8_S8_S8_S8_S8_EEEE15transform_tupleIifEEEPS9_S9_12reduce_tupleIifEEE10hipError_tPvRmT1_T2_T3_mT4_P12ihipStream_tbEUlT_E1_NS1_11comp_targetILNS1_3genE10ELNS1_11target_archE1201ELNS1_3gpuE5ELNS1_3repE0EEENS1_30default_config_static_selectorELNS0_4arch9wavefront6targetE0EEEvSY_.num_agpr, 0
	.set _ZN7rocprim17ROCPRIM_400000_NS6detail17trampoline_kernelINS0_14default_configENS1_22reduce_config_selectorIN6thrust23THRUST_200600_302600_NS5tupleIbffNS6_9null_typeES8_S8_S8_S8_S8_S8_EEEEZNS1_11reduce_implILb1ES3_NS6_11hip_rocprim26transform_input_iterator_tIS9_NS6_12zip_iteratorINS7_INS6_17counting_iteratorIiNS6_11use_defaultESG_SG_EENS6_6detail15normal_iteratorINS6_10device_ptrIfEEEES8_S8_S8_S8_S8_S8_S8_S8_EEEE15transform_tupleIifEEEPS9_S9_12reduce_tupleIifEEE10hipError_tPvRmT1_T2_T3_mT4_P12ihipStream_tbEUlT_E1_NS1_11comp_targetILNS1_3genE10ELNS1_11target_archE1201ELNS1_3gpuE5ELNS1_3repE0EEENS1_30default_config_static_selectorELNS0_4arch9wavefront6targetE0EEEvSY_.numbered_sgpr, 0
	.set _ZN7rocprim17ROCPRIM_400000_NS6detail17trampoline_kernelINS0_14default_configENS1_22reduce_config_selectorIN6thrust23THRUST_200600_302600_NS5tupleIbffNS6_9null_typeES8_S8_S8_S8_S8_S8_EEEEZNS1_11reduce_implILb1ES3_NS6_11hip_rocprim26transform_input_iterator_tIS9_NS6_12zip_iteratorINS7_INS6_17counting_iteratorIiNS6_11use_defaultESG_SG_EENS6_6detail15normal_iteratorINS6_10device_ptrIfEEEES8_S8_S8_S8_S8_S8_S8_S8_EEEE15transform_tupleIifEEEPS9_S9_12reduce_tupleIifEEE10hipError_tPvRmT1_T2_T3_mT4_P12ihipStream_tbEUlT_E1_NS1_11comp_targetILNS1_3genE10ELNS1_11target_archE1201ELNS1_3gpuE5ELNS1_3repE0EEENS1_30default_config_static_selectorELNS0_4arch9wavefront6targetE0EEEvSY_.num_named_barrier, 0
	.set _ZN7rocprim17ROCPRIM_400000_NS6detail17trampoline_kernelINS0_14default_configENS1_22reduce_config_selectorIN6thrust23THRUST_200600_302600_NS5tupleIbffNS6_9null_typeES8_S8_S8_S8_S8_S8_EEEEZNS1_11reduce_implILb1ES3_NS6_11hip_rocprim26transform_input_iterator_tIS9_NS6_12zip_iteratorINS7_INS6_17counting_iteratorIiNS6_11use_defaultESG_SG_EENS6_6detail15normal_iteratorINS6_10device_ptrIfEEEES8_S8_S8_S8_S8_S8_S8_S8_EEEE15transform_tupleIifEEEPS9_S9_12reduce_tupleIifEEE10hipError_tPvRmT1_T2_T3_mT4_P12ihipStream_tbEUlT_E1_NS1_11comp_targetILNS1_3genE10ELNS1_11target_archE1201ELNS1_3gpuE5ELNS1_3repE0EEENS1_30default_config_static_selectorELNS0_4arch9wavefront6targetE0EEEvSY_.private_seg_size, 0
	.set _ZN7rocprim17ROCPRIM_400000_NS6detail17trampoline_kernelINS0_14default_configENS1_22reduce_config_selectorIN6thrust23THRUST_200600_302600_NS5tupleIbffNS6_9null_typeES8_S8_S8_S8_S8_S8_EEEEZNS1_11reduce_implILb1ES3_NS6_11hip_rocprim26transform_input_iterator_tIS9_NS6_12zip_iteratorINS7_INS6_17counting_iteratorIiNS6_11use_defaultESG_SG_EENS6_6detail15normal_iteratorINS6_10device_ptrIfEEEES8_S8_S8_S8_S8_S8_S8_S8_EEEE15transform_tupleIifEEEPS9_S9_12reduce_tupleIifEEE10hipError_tPvRmT1_T2_T3_mT4_P12ihipStream_tbEUlT_E1_NS1_11comp_targetILNS1_3genE10ELNS1_11target_archE1201ELNS1_3gpuE5ELNS1_3repE0EEENS1_30default_config_static_selectorELNS0_4arch9wavefront6targetE0EEEvSY_.uses_vcc, 0
	.set _ZN7rocprim17ROCPRIM_400000_NS6detail17trampoline_kernelINS0_14default_configENS1_22reduce_config_selectorIN6thrust23THRUST_200600_302600_NS5tupleIbffNS6_9null_typeES8_S8_S8_S8_S8_S8_EEEEZNS1_11reduce_implILb1ES3_NS6_11hip_rocprim26transform_input_iterator_tIS9_NS6_12zip_iteratorINS7_INS6_17counting_iteratorIiNS6_11use_defaultESG_SG_EENS6_6detail15normal_iteratorINS6_10device_ptrIfEEEES8_S8_S8_S8_S8_S8_S8_S8_EEEE15transform_tupleIifEEEPS9_S9_12reduce_tupleIifEEE10hipError_tPvRmT1_T2_T3_mT4_P12ihipStream_tbEUlT_E1_NS1_11comp_targetILNS1_3genE10ELNS1_11target_archE1201ELNS1_3gpuE5ELNS1_3repE0EEENS1_30default_config_static_selectorELNS0_4arch9wavefront6targetE0EEEvSY_.uses_flat_scratch, 0
	.set _ZN7rocprim17ROCPRIM_400000_NS6detail17trampoline_kernelINS0_14default_configENS1_22reduce_config_selectorIN6thrust23THRUST_200600_302600_NS5tupleIbffNS6_9null_typeES8_S8_S8_S8_S8_S8_EEEEZNS1_11reduce_implILb1ES3_NS6_11hip_rocprim26transform_input_iterator_tIS9_NS6_12zip_iteratorINS7_INS6_17counting_iteratorIiNS6_11use_defaultESG_SG_EENS6_6detail15normal_iteratorINS6_10device_ptrIfEEEES8_S8_S8_S8_S8_S8_S8_S8_EEEE15transform_tupleIifEEEPS9_S9_12reduce_tupleIifEEE10hipError_tPvRmT1_T2_T3_mT4_P12ihipStream_tbEUlT_E1_NS1_11comp_targetILNS1_3genE10ELNS1_11target_archE1201ELNS1_3gpuE5ELNS1_3repE0EEENS1_30default_config_static_selectorELNS0_4arch9wavefront6targetE0EEEvSY_.has_dyn_sized_stack, 0
	.set _ZN7rocprim17ROCPRIM_400000_NS6detail17trampoline_kernelINS0_14default_configENS1_22reduce_config_selectorIN6thrust23THRUST_200600_302600_NS5tupleIbffNS6_9null_typeES8_S8_S8_S8_S8_S8_EEEEZNS1_11reduce_implILb1ES3_NS6_11hip_rocprim26transform_input_iterator_tIS9_NS6_12zip_iteratorINS7_INS6_17counting_iteratorIiNS6_11use_defaultESG_SG_EENS6_6detail15normal_iteratorINS6_10device_ptrIfEEEES8_S8_S8_S8_S8_S8_S8_S8_EEEE15transform_tupleIifEEEPS9_S9_12reduce_tupleIifEEE10hipError_tPvRmT1_T2_T3_mT4_P12ihipStream_tbEUlT_E1_NS1_11comp_targetILNS1_3genE10ELNS1_11target_archE1201ELNS1_3gpuE5ELNS1_3repE0EEENS1_30default_config_static_selectorELNS0_4arch9wavefront6targetE0EEEvSY_.has_recursion, 0
	.set _ZN7rocprim17ROCPRIM_400000_NS6detail17trampoline_kernelINS0_14default_configENS1_22reduce_config_selectorIN6thrust23THRUST_200600_302600_NS5tupleIbffNS6_9null_typeES8_S8_S8_S8_S8_S8_EEEEZNS1_11reduce_implILb1ES3_NS6_11hip_rocprim26transform_input_iterator_tIS9_NS6_12zip_iteratorINS7_INS6_17counting_iteratorIiNS6_11use_defaultESG_SG_EENS6_6detail15normal_iteratorINS6_10device_ptrIfEEEES8_S8_S8_S8_S8_S8_S8_S8_EEEE15transform_tupleIifEEEPS9_S9_12reduce_tupleIifEEE10hipError_tPvRmT1_T2_T3_mT4_P12ihipStream_tbEUlT_E1_NS1_11comp_targetILNS1_3genE10ELNS1_11target_archE1201ELNS1_3gpuE5ELNS1_3repE0EEENS1_30default_config_static_selectorELNS0_4arch9wavefront6targetE0EEEvSY_.has_indirect_call, 0
	.section	.AMDGPU.csdata,"",@progbits
; Kernel info:
; codeLenInByte = 0
; TotalNumSgprs: 0
; NumVgprs: 0
; ScratchSize: 0
; MemoryBound: 0
; FloatMode: 240
; IeeeMode: 1
; LDSByteSize: 0 bytes/workgroup (compile time only)
; SGPRBlocks: 0
; VGPRBlocks: 0
; NumSGPRsForWavesPerEU: 1
; NumVGPRsForWavesPerEU: 1
; Occupancy: 16
; WaveLimiterHint : 0
; COMPUTE_PGM_RSRC2:SCRATCH_EN: 0
; COMPUTE_PGM_RSRC2:USER_SGPR: 6
; COMPUTE_PGM_RSRC2:TRAP_HANDLER: 0
; COMPUTE_PGM_RSRC2:TGID_X_EN: 1
; COMPUTE_PGM_RSRC2:TGID_Y_EN: 0
; COMPUTE_PGM_RSRC2:TGID_Z_EN: 0
; COMPUTE_PGM_RSRC2:TIDIG_COMP_CNT: 0
	.section	.text._ZN7rocprim17ROCPRIM_400000_NS6detail17trampoline_kernelINS0_14default_configENS1_22reduce_config_selectorIN6thrust23THRUST_200600_302600_NS5tupleIbffNS6_9null_typeES8_S8_S8_S8_S8_S8_EEEEZNS1_11reduce_implILb1ES3_NS6_11hip_rocprim26transform_input_iterator_tIS9_NS6_12zip_iteratorINS7_INS6_17counting_iteratorIiNS6_11use_defaultESG_SG_EENS6_6detail15normal_iteratorINS6_10device_ptrIfEEEES8_S8_S8_S8_S8_S8_S8_S8_EEEE15transform_tupleIifEEEPS9_S9_12reduce_tupleIifEEE10hipError_tPvRmT1_T2_T3_mT4_P12ihipStream_tbEUlT_E1_NS1_11comp_targetILNS1_3genE10ELNS1_11target_archE1200ELNS1_3gpuE4ELNS1_3repE0EEENS1_30default_config_static_selectorELNS0_4arch9wavefront6targetE0EEEvSY_,"axG",@progbits,_ZN7rocprim17ROCPRIM_400000_NS6detail17trampoline_kernelINS0_14default_configENS1_22reduce_config_selectorIN6thrust23THRUST_200600_302600_NS5tupleIbffNS6_9null_typeES8_S8_S8_S8_S8_S8_EEEEZNS1_11reduce_implILb1ES3_NS6_11hip_rocprim26transform_input_iterator_tIS9_NS6_12zip_iteratorINS7_INS6_17counting_iteratorIiNS6_11use_defaultESG_SG_EENS6_6detail15normal_iteratorINS6_10device_ptrIfEEEES8_S8_S8_S8_S8_S8_S8_S8_EEEE15transform_tupleIifEEEPS9_S9_12reduce_tupleIifEEE10hipError_tPvRmT1_T2_T3_mT4_P12ihipStream_tbEUlT_E1_NS1_11comp_targetILNS1_3genE10ELNS1_11target_archE1200ELNS1_3gpuE4ELNS1_3repE0EEENS1_30default_config_static_selectorELNS0_4arch9wavefront6targetE0EEEvSY_,comdat
	.protected	_ZN7rocprim17ROCPRIM_400000_NS6detail17trampoline_kernelINS0_14default_configENS1_22reduce_config_selectorIN6thrust23THRUST_200600_302600_NS5tupleIbffNS6_9null_typeES8_S8_S8_S8_S8_S8_EEEEZNS1_11reduce_implILb1ES3_NS6_11hip_rocprim26transform_input_iterator_tIS9_NS6_12zip_iteratorINS7_INS6_17counting_iteratorIiNS6_11use_defaultESG_SG_EENS6_6detail15normal_iteratorINS6_10device_ptrIfEEEES8_S8_S8_S8_S8_S8_S8_S8_EEEE15transform_tupleIifEEEPS9_S9_12reduce_tupleIifEEE10hipError_tPvRmT1_T2_T3_mT4_P12ihipStream_tbEUlT_E1_NS1_11comp_targetILNS1_3genE10ELNS1_11target_archE1200ELNS1_3gpuE4ELNS1_3repE0EEENS1_30default_config_static_selectorELNS0_4arch9wavefront6targetE0EEEvSY_ ; -- Begin function _ZN7rocprim17ROCPRIM_400000_NS6detail17trampoline_kernelINS0_14default_configENS1_22reduce_config_selectorIN6thrust23THRUST_200600_302600_NS5tupleIbffNS6_9null_typeES8_S8_S8_S8_S8_S8_EEEEZNS1_11reduce_implILb1ES3_NS6_11hip_rocprim26transform_input_iterator_tIS9_NS6_12zip_iteratorINS7_INS6_17counting_iteratorIiNS6_11use_defaultESG_SG_EENS6_6detail15normal_iteratorINS6_10device_ptrIfEEEES8_S8_S8_S8_S8_S8_S8_S8_EEEE15transform_tupleIifEEEPS9_S9_12reduce_tupleIifEEE10hipError_tPvRmT1_T2_T3_mT4_P12ihipStream_tbEUlT_E1_NS1_11comp_targetILNS1_3genE10ELNS1_11target_archE1200ELNS1_3gpuE4ELNS1_3repE0EEENS1_30default_config_static_selectorELNS0_4arch9wavefront6targetE0EEEvSY_
	.globl	_ZN7rocprim17ROCPRIM_400000_NS6detail17trampoline_kernelINS0_14default_configENS1_22reduce_config_selectorIN6thrust23THRUST_200600_302600_NS5tupleIbffNS6_9null_typeES8_S8_S8_S8_S8_S8_EEEEZNS1_11reduce_implILb1ES3_NS6_11hip_rocprim26transform_input_iterator_tIS9_NS6_12zip_iteratorINS7_INS6_17counting_iteratorIiNS6_11use_defaultESG_SG_EENS6_6detail15normal_iteratorINS6_10device_ptrIfEEEES8_S8_S8_S8_S8_S8_S8_S8_EEEE15transform_tupleIifEEEPS9_S9_12reduce_tupleIifEEE10hipError_tPvRmT1_T2_T3_mT4_P12ihipStream_tbEUlT_E1_NS1_11comp_targetILNS1_3genE10ELNS1_11target_archE1200ELNS1_3gpuE4ELNS1_3repE0EEENS1_30default_config_static_selectorELNS0_4arch9wavefront6targetE0EEEvSY_
	.p2align	8
	.type	_ZN7rocprim17ROCPRIM_400000_NS6detail17trampoline_kernelINS0_14default_configENS1_22reduce_config_selectorIN6thrust23THRUST_200600_302600_NS5tupleIbffNS6_9null_typeES8_S8_S8_S8_S8_S8_EEEEZNS1_11reduce_implILb1ES3_NS6_11hip_rocprim26transform_input_iterator_tIS9_NS6_12zip_iteratorINS7_INS6_17counting_iteratorIiNS6_11use_defaultESG_SG_EENS6_6detail15normal_iteratorINS6_10device_ptrIfEEEES8_S8_S8_S8_S8_S8_S8_S8_EEEE15transform_tupleIifEEEPS9_S9_12reduce_tupleIifEEE10hipError_tPvRmT1_T2_T3_mT4_P12ihipStream_tbEUlT_E1_NS1_11comp_targetILNS1_3genE10ELNS1_11target_archE1200ELNS1_3gpuE4ELNS1_3repE0EEENS1_30default_config_static_selectorELNS0_4arch9wavefront6targetE0EEEvSY_,@function
_ZN7rocprim17ROCPRIM_400000_NS6detail17trampoline_kernelINS0_14default_configENS1_22reduce_config_selectorIN6thrust23THRUST_200600_302600_NS5tupleIbffNS6_9null_typeES8_S8_S8_S8_S8_S8_EEEEZNS1_11reduce_implILb1ES3_NS6_11hip_rocprim26transform_input_iterator_tIS9_NS6_12zip_iteratorINS7_INS6_17counting_iteratorIiNS6_11use_defaultESG_SG_EENS6_6detail15normal_iteratorINS6_10device_ptrIfEEEES8_S8_S8_S8_S8_S8_S8_S8_EEEE15transform_tupleIifEEEPS9_S9_12reduce_tupleIifEEE10hipError_tPvRmT1_T2_T3_mT4_P12ihipStream_tbEUlT_E1_NS1_11comp_targetILNS1_3genE10ELNS1_11target_archE1200ELNS1_3gpuE4ELNS1_3repE0EEENS1_30default_config_static_selectorELNS0_4arch9wavefront6targetE0EEEvSY_: ; @_ZN7rocprim17ROCPRIM_400000_NS6detail17trampoline_kernelINS0_14default_configENS1_22reduce_config_selectorIN6thrust23THRUST_200600_302600_NS5tupleIbffNS6_9null_typeES8_S8_S8_S8_S8_S8_EEEEZNS1_11reduce_implILb1ES3_NS6_11hip_rocprim26transform_input_iterator_tIS9_NS6_12zip_iteratorINS7_INS6_17counting_iteratorIiNS6_11use_defaultESG_SG_EENS6_6detail15normal_iteratorINS6_10device_ptrIfEEEES8_S8_S8_S8_S8_S8_S8_S8_EEEE15transform_tupleIifEEEPS9_S9_12reduce_tupleIifEEE10hipError_tPvRmT1_T2_T3_mT4_P12ihipStream_tbEUlT_E1_NS1_11comp_targetILNS1_3genE10ELNS1_11target_archE1200ELNS1_3gpuE4ELNS1_3repE0EEENS1_30default_config_static_selectorELNS0_4arch9wavefront6targetE0EEEvSY_
; %bb.0:
	.section	.rodata,"a",@progbits
	.p2align	6, 0x0
	.amdhsa_kernel _ZN7rocprim17ROCPRIM_400000_NS6detail17trampoline_kernelINS0_14default_configENS1_22reduce_config_selectorIN6thrust23THRUST_200600_302600_NS5tupleIbffNS6_9null_typeES8_S8_S8_S8_S8_S8_EEEEZNS1_11reduce_implILb1ES3_NS6_11hip_rocprim26transform_input_iterator_tIS9_NS6_12zip_iteratorINS7_INS6_17counting_iteratorIiNS6_11use_defaultESG_SG_EENS6_6detail15normal_iteratorINS6_10device_ptrIfEEEES8_S8_S8_S8_S8_S8_S8_S8_EEEE15transform_tupleIifEEEPS9_S9_12reduce_tupleIifEEE10hipError_tPvRmT1_T2_T3_mT4_P12ihipStream_tbEUlT_E1_NS1_11comp_targetILNS1_3genE10ELNS1_11target_archE1200ELNS1_3gpuE4ELNS1_3repE0EEENS1_30default_config_static_selectorELNS0_4arch9wavefront6targetE0EEEvSY_
		.amdhsa_group_segment_fixed_size 0
		.amdhsa_private_segment_fixed_size 0
		.amdhsa_kernarg_size 64
		.amdhsa_user_sgpr_count 6
		.amdhsa_user_sgpr_private_segment_buffer 1
		.amdhsa_user_sgpr_dispatch_ptr 0
		.amdhsa_user_sgpr_queue_ptr 0
		.amdhsa_user_sgpr_kernarg_segment_ptr 1
		.amdhsa_user_sgpr_dispatch_id 0
		.amdhsa_user_sgpr_flat_scratch_init 0
		.amdhsa_user_sgpr_private_segment_size 0
		.amdhsa_wavefront_size32 1
		.amdhsa_uses_dynamic_stack 0
		.amdhsa_system_sgpr_private_segment_wavefront_offset 0
		.amdhsa_system_sgpr_workgroup_id_x 1
		.amdhsa_system_sgpr_workgroup_id_y 0
		.amdhsa_system_sgpr_workgroup_id_z 0
		.amdhsa_system_sgpr_workgroup_info 0
		.amdhsa_system_vgpr_workitem_id 0
		.amdhsa_next_free_vgpr 1
		.amdhsa_next_free_sgpr 1
		.amdhsa_reserve_vcc 0
		.amdhsa_reserve_flat_scratch 0
		.amdhsa_float_round_mode_32 0
		.amdhsa_float_round_mode_16_64 0
		.amdhsa_float_denorm_mode_32 3
		.amdhsa_float_denorm_mode_16_64 3
		.amdhsa_dx10_clamp 1
		.amdhsa_ieee_mode 1
		.amdhsa_fp16_overflow 0
		.amdhsa_workgroup_processor_mode 1
		.amdhsa_memory_ordered 1
		.amdhsa_forward_progress 1
		.amdhsa_shared_vgpr_count 0
		.amdhsa_exception_fp_ieee_invalid_op 0
		.amdhsa_exception_fp_denorm_src 0
		.amdhsa_exception_fp_ieee_div_zero 0
		.amdhsa_exception_fp_ieee_overflow 0
		.amdhsa_exception_fp_ieee_underflow 0
		.amdhsa_exception_fp_ieee_inexact 0
		.amdhsa_exception_int_div_zero 0
	.end_amdhsa_kernel
	.section	.text._ZN7rocprim17ROCPRIM_400000_NS6detail17trampoline_kernelINS0_14default_configENS1_22reduce_config_selectorIN6thrust23THRUST_200600_302600_NS5tupleIbffNS6_9null_typeES8_S8_S8_S8_S8_S8_EEEEZNS1_11reduce_implILb1ES3_NS6_11hip_rocprim26transform_input_iterator_tIS9_NS6_12zip_iteratorINS7_INS6_17counting_iteratorIiNS6_11use_defaultESG_SG_EENS6_6detail15normal_iteratorINS6_10device_ptrIfEEEES8_S8_S8_S8_S8_S8_S8_S8_EEEE15transform_tupleIifEEEPS9_S9_12reduce_tupleIifEEE10hipError_tPvRmT1_T2_T3_mT4_P12ihipStream_tbEUlT_E1_NS1_11comp_targetILNS1_3genE10ELNS1_11target_archE1200ELNS1_3gpuE4ELNS1_3repE0EEENS1_30default_config_static_selectorELNS0_4arch9wavefront6targetE0EEEvSY_,"axG",@progbits,_ZN7rocprim17ROCPRIM_400000_NS6detail17trampoline_kernelINS0_14default_configENS1_22reduce_config_selectorIN6thrust23THRUST_200600_302600_NS5tupleIbffNS6_9null_typeES8_S8_S8_S8_S8_S8_EEEEZNS1_11reduce_implILb1ES3_NS6_11hip_rocprim26transform_input_iterator_tIS9_NS6_12zip_iteratorINS7_INS6_17counting_iteratorIiNS6_11use_defaultESG_SG_EENS6_6detail15normal_iteratorINS6_10device_ptrIfEEEES8_S8_S8_S8_S8_S8_S8_S8_EEEE15transform_tupleIifEEEPS9_S9_12reduce_tupleIifEEE10hipError_tPvRmT1_T2_T3_mT4_P12ihipStream_tbEUlT_E1_NS1_11comp_targetILNS1_3genE10ELNS1_11target_archE1200ELNS1_3gpuE4ELNS1_3repE0EEENS1_30default_config_static_selectorELNS0_4arch9wavefront6targetE0EEEvSY_,comdat
.Lfunc_end34:
	.size	_ZN7rocprim17ROCPRIM_400000_NS6detail17trampoline_kernelINS0_14default_configENS1_22reduce_config_selectorIN6thrust23THRUST_200600_302600_NS5tupleIbffNS6_9null_typeES8_S8_S8_S8_S8_S8_EEEEZNS1_11reduce_implILb1ES3_NS6_11hip_rocprim26transform_input_iterator_tIS9_NS6_12zip_iteratorINS7_INS6_17counting_iteratorIiNS6_11use_defaultESG_SG_EENS6_6detail15normal_iteratorINS6_10device_ptrIfEEEES8_S8_S8_S8_S8_S8_S8_S8_EEEE15transform_tupleIifEEEPS9_S9_12reduce_tupleIifEEE10hipError_tPvRmT1_T2_T3_mT4_P12ihipStream_tbEUlT_E1_NS1_11comp_targetILNS1_3genE10ELNS1_11target_archE1200ELNS1_3gpuE4ELNS1_3repE0EEENS1_30default_config_static_selectorELNS0_4arch9wavefront6targetE0EEEvSY_, .Lfunc_end34-_ZN7rocprim17ROCPRIM_400000_NS6detail17trampoline_kernelINS0_14default_configENS1_22reduce_config_selectorIN6thrust23THRUST_200600_302600_NS5tupleIbffNS6_9null_typeES8_S8_S8_S8_S8_S8_EEEEZNS1_11reduce_implILb1ES3_NS6_11hip_rocprim26transform_input_iterator_tIS9_NS6_12zip_iteratorINS7_INS6_17counting_iteratorIiNS6_11use_defaultESG_SG_EENS6_6detail15normal_iteratorINS6_10device_ptrIfEEEES8_S8_S8_S8_S8_S8_S8_S8_EEEE15transform_tupleIifEEEPS9_S9_12reduce_tupleIifEEE10hipError_tPvRmT1_T2_T3_mT4_P12ihipStream_tbEUlT_E1_NS1_11comp_targetILNS1_3genE10ELNS1_11target_archE1200ELNS1_3gpuE4ELNS1_3repE0EEENS1_30default_config_static_selectorELNS0_4arch9wavefront6targetE0EEEvSY_
                                        ; -- End function
	.set _ZN7rocprim17ROCPRIM_400000_NS6detail17trampoline_kernelINS0_14default_configENS1_22reduce_config_selectorIN6thrust23THRUST_200600_302600_NS5tupleIbffNS6_9null_typeES8_S8_S8_S8_S8_S8_EEEEZNS1_11reduce_implILb1ES3_NS6_11hip_rocprim26transform_input_iterator_tIS9_NS6_12zip_iteratorINS7_INS6_17counting_iteratorIiNS6_11use_defaultESG_SG_EENS6_6detail15normal_iteratorINS6_10device_ptrIfEEEES8_S8_S8_S8_S8_S8_S8_S8_EEEE15transform_tupleIifEEEPS9_S9_12reduce_tupleIifEEE10hipError_tPvRmT1_T2_T3_mT4_P12ihipStream_tbEUlT_E1_NS1_11comp_targetILNS1_3genE10ELNS1_11target_archE1200ELNS1_3gpuE4ELNS1_3repE0EEENS1_30default_config_static_selectorELNS0_4arch9wavefront6targetE0EEEvSY_.num_vgpr, 0
	.set _ZN7rocprim17ROCPRIM_400000_NS6detail17trampoline_kernelINS0_14default_configENS1_22reduce_config_selectorIN6thrust23THRUST_200600_302600_NS5tupleIbffNS6_9null_typeES8_S8_S8_S8_S8_S8_EEEEZNS1_11reduce_implILb1ES3_NS6_11hip_rocprim26transform_input_iterator_tIS9_NS6_12zip_iteratorINS7_INS6_17counting_iteratorIiNS6_11use_defaultESG_SG_EENS6_6detail15normal_iteratorINS6_10device_ptrIfEEEES8_S8_S8_S8_S8_S8_S8_S8_EEEE15transform_tupleIifEEEPS9_S9_12reduce_tupleIifEEE10hipError_tPvRmT1_T2_T3_mT4_P12ihipStream_tbEUlT_E1_NS1_11comp_targetILNS1_3genE10ELNS1_11target_archE1200ELNS1_3gpuE4ELNS1_3repE0EEENS1_30default_config_static_selectorELNS0_4arch9wavefront6targetE0EEEvSY_.num_agpr, 0
	.set _ZN7rocprim17ROCPRIM_400000_NS6detail17trampoline_kernelINS0_14default_configENS1_22reduce_config_selectorIN6thrust23THRUST_200600_302600_NS5tupleIbffNS6_9null_typeES8_S8_S8_S8_S8_S8_EEEEZNS1_11reduce_implILb1ES3_NS6_11hip_rocprim26transform_input_iterator_tIS9_NS6_12zip_iteratorINS7_INS6_17counting_iteratorIiNS6_11use_defaultESG_SG_EENS6_6detail15normal_iteratorINS6_10device_ptrIfEEEES8_S8_S8_S8_S8_S8_S8_S8_EEEE15transform_tupleIifEEEPS9_S9_12reduce_tupleIifEEE10hipError_tPvRmT1_T2_T3_mT4_P12ihipStream_tbEUlT_E1_NS1_11comp_targetILNS1_3genE10ELNS1_11target_archE1200ELNS1_3gpuE4ELNS1_3repE0EEENS1_30default_config_static_selectorELNS0_4arch9wavefront6targetE0EEEvSY_.numbered_sgpr, 0
	.set _ZN7rocprim17ROCPRIM_400000_NS6detail17trampoline_kernelINS0_14default_configENS1_22reduce_config_selectorIN6thrust23THRUST_200600_302600_NS5tupleIbffNS6_9null_typeES8_S8_S8_S8_S8_S8_EEEEZNS1_11reduce_implILb1ES3_NS6_11hip_rocprim26transform_input_iterator_tIS9_NS6_12zip_iteratorINS7_INS6_17counting_iteratorIiNS6_11use_defaultESG_SG_EENS6_6detail15normal_iteratorINS6_10device_ptrIfEEEES8_S8_S8_S8_S8_S8_S8_S8_EEEE15transform_tupleIifEEEPS9_S9_12reduce_tupleIifEEE10hipError_tPvRmT1_T2_T3_mT4_P12ihipStream_tbEUlT_E1_NS1_11comp_targetILNS1_3genE10ELNS1_11target_archE1200ELNS1_3gpuE4ELNS1_3repE0EEENS1_30default_config_static_selectorELNS0_4arch9wavefront6targetE0EEEvSY_.num_named_barrier, 0
	.set _ZN7rocprim17ROCPRIM_400000_NS6detail17trampoline_kernelINS0_14default_configENS1_22reduce_config_selectorIN6thrust23THRUST_200600_302600_NS5tupleIbffNS6_9null_typeES8_S8_S8_S8_S8_S8_EEEEZNS1_11reduce_implILb1ES3_NS6_11hip_rocprim26transform_input_iterator_tIS9_NS6_12zip_iteratorINS7_INS6_17counting_iteratorIiNS6_11use_defaultESG_SG_EENS6_6detail15normal_iteratorINS6_10device_ptrIfEEEES8_S8_S8_S8_S8_S8_S8_S8_EEEE15transform_tupleIifEEEPS9_S9_12reduce_tupleIifEEE10hipError_tPvRmT1_T2_T3_mT4_P12ihipStream_tbEUlT_E1_NS1_11comp_targetILNS1_3genE10ELNS1_11target_archE1200ELNS1_3gpuE4ELNS1_3repE0EEENS1_30default_config_static_selectorELNS0_4arch9wavefront6targetE0EEEvSY_.private_seg_size, 0
	.set _ZN7rocprim17ROCPRIM_400000_NS6detail17trampoline_kernelINS0_14default_configENS1_22reduce_config_selectorIN6thrust23THRUST_200600_302600_NS5tupleIbffNS6_9null_typeES8_S8_S8_S8_S8_S8_EEEEZNS1_11reduce_implILb1ES3_NS6_11hip_rocprim26transform_input_iterator_tIS9_NS6_12zip_iteratorINS7_INS6_17counting_iteratorIiNS6_11use_defaultESG_SG_EENS6_6detail15normal_iteratorINS6_10device_ptrIfEEEES8_S8_S8_S8_S8_S8_S8_S8_EEEE15transform_tupleIifEEEPS9_S9_12reduce_tupleIifEEE10hipError_tPvRmT1_T2_T3_mT4_P12ihipStream_tbEUlT_E1_NS1_11comp_targetILNS1_3genE10ELNS1_11target_archE1200ELNS1_3gpuE4ELNS1_3repE0EEENS1_30default_config_static_selectorELNS0_4arch9wavefront6targetE0EEEvSY_.uses_vcc, 0
	.set _ZN7rocprim17ROCPRIM_400000_NS6detail17trampoline_kernelINS0_14default_configENS1_22reduce_config_selectorIN6thrust23THRUST_200600_302600_NS5tupleIbffNS6_9null_typeES8_S8_S8_S8_S8_S8_EEEEZNS1_11reduce_implILb1ES3_NS6_11hip_rocprim26transform_input_iterator_tIS9_NS6_12zip_iteratorINS7_INS6_17counting_iteratorIiNS6_11use_defaultESG_SG_EENS6_6detail15normal_iteratorINS6_10device_ptrIfEEEES8_S8_S8_S8_S8_S8_S8_S8_EEEE15transform_tupleIifEEEPS9_S9_12reduce_tupleIifEEE10hipError_tPvRmT1_T2_T3_mT4_P12ihipStream_tbEUlT_E1_NS1_11comp_targetILNS1_3genE10ELNS1_11target_archE1200ELNS1_3gpuE4ELNS1_3repE0EEENS1_30default_config_static_selectorELNS0_4arch9wavefront6targetE0EEEvSY_.uses_flat_scratch, 0
	.set _ZN7rocprim17ROCPRIM_400000_NS6detail17trampoline_kernelINS0_14default_configENS1_22reduce_config_selectorIN6thrust23THRUST_200600_302600_NS5tupleIbffNS6_9null_typeES8_S8_S8_S8_S8_S8_EEEEZNS1_11reduce_implILb1ES3_NS6_11hip_rocprim26transform_input_iterator_tIS9_NS6_12zip_iteratorINS7_INS6_17counting_iteratorIiNS6_11use_defaultESG_SG_EENS6_6detail15normal_iteratorINS6_10device_ptrIfEEEES8_S8_S8_S8_S8_S8_S8_S8_EEEE15transform_tupleIifEEEPS9_S9_12reduce_tupleIifEEE10hipError_tPvRmT1_T2_T3_mT4_P12ihipStream_tbEUlT_E1_NS1_11comp_targetILNS1_3genE10ELNS1_11target_archE1200ELNS1_3gpuE4ELNS1_3repE0EEENS1_30default_config_static_selectorELNS0_4arch9wavefront6targetE0EEEvSY_.has_dyn_sized_stack, 0
	.set _ZN7rocprim17ROCPRIM_400000_NS6detail17trampoline_kernelINS0_14default_configENS1_22reduce_config_selectorIN6thrust23THRUST_200600_302600_NS5tupleIbffNS6_9null_typeES8_S8_S8_S8_S8_S8_EEEEZNS1_11reduce_implILb1ES3_NS6_11hip_rocprim26transform_input_iterator_tIS9_NS6_12zip_iteratorINS7_INS6_17counting_iteratorIiNS6_11use_defaultESG_SG_EENS6_6detail15normal_iteratorINS6_10device_ptrIfEEEES8_S8_S8_S8_S8_S8_S8_S8_EEEE15transform_tupleIifEEEPS9_S9_12reduce_tupleIifEEE10hipError_tPvRmT1_T2_T3_mT4_P12ihipStream_tbEUlT_E1_NS1_11comp_targetILNS1_3genE10ELNS1_11target_archE1200ELNS1_3gpuE4ELNS1_3repE0EEENS1_30default_config_static_selectorELNS0_4arch9wavefront6targetE0EEEvSY_.has_recursion, 0
	.set _ZN7rocprim17ROCPRIM_400000_NS6detail17trampoline_kernelINS0_14default_configENS1_22reduce_config_selectorIN6thrust23THRUST_200600_302600_NS5tupleIbffNS6_9null_typeES8_S8_S8_S8_S8_S8_EEEEZNS1_11reduce_implILb1ES3_NS6_11hip_rocprim26transform_input_iterator_tIS9_NS6_12zip_iteratorINS7_INS6_17counting_iteratorIiNS6_11use_defaultESG_SG_EENS6_6detail15normal_iteratorINS6_10device_ptrIfEEEES8_S8_S8_S8_S8_S8_S8_S8_EEEE15transform_tupleIifEEEPS9_S9_12reduce_tupleIifEEE10hipError_tPvRmT1_T2_T3_mT4_P12ihipStream_tbEUlT_E1_NS1_11comp_targetILNS1_3genE10ELNS1_11target_archE1200ELNS1_3gpuE4ELNS1_3repE0EEENS1_30default_config_static_selectorELNS0_4arch9wavefront6targetE0EEEvSY_.has_indirect_call, 0
	.section	.AMDGPU.csdata,"",@progbits
; Kernel info:
; codeLenInByte = 0
; TotalNumSgprs: 0
; NumVgprs: 0
; ScratchSize: 0
; MemoryBound: 0
; FloatMode: 240
; IeeeMode: 1
; LDSByteSize: 0 bytes/workgroup (compile time only)
; SGPRBlocks: 0
; VGPRBlocks: 0
; NumSGPRsForWavesPerEU: 1
; NumVGPRsForWavesPerEU: 1
; Occupancy: 16
; WaveLimiterHint : 0
; COMPUTE_PGM_RSRC2:SCRATCH_EN: 0
; COMPUTE_PGM_RSRC2:USER_SGPR: 6
; COMPUTE_PGM_RSRC2:TRAP_HANDLER: 0
; COMPUTE_PGM_RSRC2:TGID_X_EN: 1
; COMPUTE_PGM_RSRC2:TGID_Y_EN: 0
; COMPUTE_PGM_RSRC2:TGID_Z_EN: 0
; COMPUTE_PGM_RSRC2:TIDIG_COMP_CNT: 0
	.section	.text._ZN7rocprim17ROCPRIM_400000_NS6detail17trampoline_kernelINS0_14default_configENS1_22reduce_config_selectorIN6thrust23THRUST_200600_302600_NS5tupleIbffNS6_9null_typeES8_S8_S8_S8_S8_S8_EEEEZNS1_11reduce_implILb1ES3_NS6_11hip_rocprim26transform_input_iterator_tIS9_NS6_12zip_iteratorINS7_INS6_17counting_iteratorIiNS6_11use_defaultESG_SG_EENS6_6detail15normal_iteratorINS6_10device_ptrIfEEEES8_S8_S8_S8_S8_S8_S8_S8_EEEE15transform_tupleIifEEEPS9_S9_12reduce_tupleIifEEE10hipError_tPvRmT1_T2_T3_mT4_P12ihipStream_tbEUlT_E1_NS1_11comp_targetILNS1_3genE9ELNS1_11target_archE1100ELNS1_3gpuE3ELNS1_3repE0EEENS1_30default_config_static_selectorELNS0_4arch9wavefront6targetE0EEEvSY_,"axG",@progbits,_ZN7rocprim17ROCPRIM_400000_NS6detail17trampoline_kernelINS0_14default_configENS1_22reduce_config_selectorIN6thrust23THRUST_200600_302600_NS5tupleIbffNS6_9null_typeES8_S8_S8_S8_S8_S8_EEEEZNS1_11reduce_implILb1ES3_NS6_11hip_rocprim26transform_input_iterator_tIS9_NS6_12zip_iteratorINS7_INS6_17counting_iteratorIiNS6_11use_defaultESG_SG_EENS6_6detail15normal_iteratorINS6_10device_ptrIfEEEES8_S8_S8_S8_S8_S8_S8_S8_EEEE15transform_tupleIifEEEPS9_S9_12reduce_tupleIifEEE10hipError_tPvRmT1_T2_T3_mT4_P12ihipStream_tbEUlT_E1_NS1_11comp_targetILNS1_3genE9ELNS1_11target_archE1100ELNS1_3gpuE3ELNS1_3repE0EEENS1_30default_config_static_selectorELNS0_4arch9wavefront6targetE0EEEvSY_,comdat
	.protected	_ZN7rocprim17ROCPRIM_400000_NS6detail17trampoline_kernelINS0_14default_configENS1_22reduce_config_selectorIN6thrust23THRUST_200600_302600_NS5tupleIbffNS6_9null_typeES8_S8_S8_S8_S8_S8_EEEEZNS1_11reduce_implILb1ES3_NS6_11hip_rocprim26transform_input_iterator_tIS9_NS6_12zip_iteratorINS7_INS6_17counting_iteratorIiNS6_11use_defaultESG_SG_EENS6_6detail15normal_iteratorINS6_10device_ptrIfEEEES8_S8_S8_S8_S8_S8_S8_S8_EEEE15transform_tupleIifEEEPS9_S9_12reduce_tupleIifEEE10hipError_tPvRmT1_T2_T3_mT4_P12ihipStream_tbEUlT_E1_NS1_11comp_targetILNS1_3genE9ELNS1_11target_archE1100ELNS1_3gpuE3ELNS1_3repE0EEENS1_30default_config_static_selectorELNS0_4arch9wavefront6targetE0EEEvSY_ ; -- Begin function _ZN7rocprim17ROCPRIM_400000_NS6detail17trampoline_kernelINS0_14default_configENS1_22reduce_config_selectorIN6thrust23THRUST_200600_302600_NS5tupleIbffNS6_9null_typeES8_S8_S8_S8_S8_S8_EEEEZNS1_11reduce_implILb1ES3_NS6_11hip_rocprim26transform_input_iterator_tIS9_NS6_12zip_iteratorINS7_INS6_17counting_iteratorIiNS6_11use_defaultESG_SG_EENS6_6detail15normal_iteratorINS6_10device_ptrIfEEEES8_S8_S8_S8_S8_S8_S8_S8_EEEE15transform_tupleIifEEEPS9_S9_12reduce_tupleIifEEE10hipError_tPvRmT1_T2_T3_mT4_P12ihipStream_tbEUlT_E1_NS1_11comp_targetILNS1_3genE9ELNS1_11target_archE1100ELNS1_3gpuE3ELNS1_3repE0EEENS1_30default_config_static_selectorELNS0_4arch9wavefront6targetE0EEEvSY_
	.globl	_ZN7rocprim17ROCPRIM_400000_NS6detail17trampoline_kernelINS0_14default_configENS1_22reduce_config_selectorIN6thrust23THRUST_200600_302600_NS5tupleIbffNS6_9null_typeES8_S8_S8_S8_S8_S8_EEEEZNS1_11reduce_implILb1ES3_NS6_11hip_rocprim26transform_input_iterator_tIS9_NS6_12zip_iteratorINS7_INS6_17counting_iteratorIiNS6_11use_defaultESG_SG_EENS6_6detail15normal_iteratorINS6_10device_ptrIfEEEES8_S8_S8_S8_S8_S8_S8_S8_EEEE15transform_tupleIifEEEPS9_S9_12reduce_tupleIifEEE10hipError_tPvRmT1_T2_T3_mT4_P12ihipStream_tbEUlT_E1_NS1_11comp_targetILNS1_3genE9ELNS1_11target_archE1100ELNS1_3gpuE3ELNS1_3repE0EEENS1_30default_config_static_selectorELNS0_4arch9wavefront6targetE0EEEvSY_
	.p2align	8
	.type	_ZN7rocprim17ROCPRIM_400000_NS6detail17trampoline_kernelINS0_14default_configENS1_22reduce_config_selectorIN6thrust23THRUST_200600_302600_NS5tupleIbffNS6_9null_typeES8_S8_S8_S8_S8_S8_EEEEZNS1_11reduce_implILb1ES3_NS6_11hip_rocprim26transform_input_iterator_tIS9_NS6_12zip_iteratorINS7_INS6_17counting_iteratorIiNS6_11use_defaultESG_SG_EENS6_6detail15normal_iteratorINS6_10device_ptrIfEEEES8_S8_S8_S8_S8_S8_S8_S8_EEEE15transform_tupleIifEEEPS9_S9_12reduce_tupleIifEEE10hipError_tPvRmT1_T2_T3_mT4_P12ihipStream_tbEUlT_E1_NS1_11comp_targetILNS1_3genE9ELNS1_11target_archE1100ELNS1_3gpuE3ELNS1_3repE0EEENS1_30default_config_static_selectorELNS0_4arch9wavefront6targetE0EEEvSY_,@function
_ZN7rocprim17ROCPRIM_400000_NS6detail17trampoline_kernelINS0_14default_configENS1_22reduce_config_selectorIN6thrust23THRUST_200600_302600_NS5tupleIbffNS6_9null_typeES8_S8_S8_S8_S8_S8_EEEEZNS1_11reduce_implILb1ES3_NS6_11hip_rocprim26transform_input_iterator_tIS9_NS6_12zip_iteratorINS7_INS6_17counting_iteratorIiNS6_11use_defaultESG_SG_EENS6_6detail15normal_iteratorINS6_10device_ptrIfEEEES8_S8_S8_S8_S8_S8_S8_S8_EEEE15transform_tupleIifEEEPS9_S9_12reduce_tupleIifEEE10hipError_tPvRmT1_T2_T3_mT4_P12ihipStream_tbEUlT_E1_NS1_11comp_targetILNS1_3genE9ELNS1_11target_archE1100ELNS1_3gpuE3ELNS1_3repE0EEENS1_30default_config_static_selectorELNS0_4arch9wavefront6targetE0EEEvSY_: ; @_ZN7rocprim17ROCPRIM_400000_NS6detail17trampoline_kernelINS0_14default_configENS1_22reduce_config_selectorIN6thrust23THRUST_200600_302600_NS5tupleIbffNS6_9null_typeES8_S8_S8_S8_S8_S8_EEEEZNS1_11reduce_implILb1ES3_NS6_11hip_rocprim26transform_input_iterator_tIS9_NS6_12zip_iteratorINS7_INS6_17counting_iteratorIiNS6_11use_defaultESG_SG_EENS6_6detail15normal_iteratorINS6_10device_ptrIfEEEES8_S8_S8_S8_S8_S8_S8_S8_EEEE15transform_tupleIifEEEPS9_S9_12reduce_tupleIifEEE10hipError_tPvRmT1_T2_T3_mT4_P12ihipStream_tbEUlT_E1_NS1_11comp_targetILNS1_3genE9ELNS1_11target_archE1100ELNS1_3gpuE3ELNS1_3repE0EEENS1_30default_config_static_selectorELNS0_4arch9wavefront6targetE0EEEvSY_
; %bb.0:
	.section	.rodata,"a",@progbits
	.p2align	6, 0x0
	.amdhsa_kernel _ZN7rocprim17ROCPRIM_400000_NS6detail17trampoline_kernelINS0_14default_configENS1_22reduce_config_selectorIN6thrust23THRUST_200600_302600_NS5tupleIbffNS6_9null_typeES8_S8_S8_S8_S8_S8_EEEEZNS1_11reduce_implILb1ES3_NS6_11hip_rocprim26transform_input_iterator_tIS9_NS6_12zip_iteratorINS7_INS6_17counting_iteratorIiNS6_11use_defaultESG_SG_EENS6_6detail15normal_iteratorINS6_10device_ptrIfEEEES8_S8_S8_S8_S8_S8_S8_S8_EEEE15transform_tupleIifEEEPS9_S9_12reduce_tupleIifEEE10hipError_tPvRmT1_T2_T3_mT4_P12ihipStream_tbEUlT_E1_NS1_11comp_targetILNS1_3genE9ELNS1_11target_archE1100ELNS1_3gpuE3ELNS1_3repE0EEENS1_30default_config_static_selectorELNS0_4arch9wavefront6targetE0EEEvSY_
		.amdhsa_group_segment_fixed_size 0
		.amdhsa_private_segment_fixed_size 0
		.amdhsa_kernarg_size 64
		.amdhsa_user_sgpr_count 6
		.amdhsa_user_sgpr_private_segment_buffer 1
		.amdhsa_user_sgpr_dispatch_ptr 0
		.amdhsa_user_sgpr_queue_ptr 0
		.amdhsa_user_sgpr_kernarg_segment_ptr 1
		.amdhsa_user_sgpr_dispatch_id 0
		.amdhsa_user_sgpr_flat_scratch_init 0
		.amdhsa_user_sgpr_private_segment_size 0
		.amdhsa_wavefront_size32 1
		.amdhsa_uses_dynamic_stack 0
		.amdhsa_system_sgpr_private_segment_wavefront_offset 0
		.amdhsa_system_sgpr_workgroup_id_x 1
		.amdhsa_system_sgpr_workgroup_id_y 0
		.amdhsa_system_sgpr_workgroup_id_z 0
		.amdhsa_system_sgpr_workgroup_info 0
		.amdhsa_system_vgpr_workitem_id 0
		.amdhsa_next_free_vgpr 1
		.amdhsa_next_free_sgpr 1
		.amdhsa_reserve_vcc 0
		.amdhsa_reserve_flat_scratch 0
		.amdhsa_float_round_mode_32 0
		.amdhsa_float_round_mode_16_64 0
		.amdhsa_float_denorm_mode_32 3
		.amdhsa_float_denorm_mode_16_64 3
		.amdhsa_dx10_clamp 1
		.amdhsa_ieee_mode 1
		.amdhsa_fp16_overflow 0
		.amdhsa_workgroup_processor_mode 1
		.amdhsa_memory_ordered 1
		.amdhsa_forward_progress 1
		.amdhsa_shared_vgpr_count 0
		.amdhsa_exception_fp_ieee_invalid_op 0
		.amdhsa_exception_fp_denorm_src 0
		.amdhsa_exception_fp_ieee_div_zero 0
		.amdhsa_exception_fp_ieee_overflow 0
		.amdhsa_exception_fp_ieee_underflow 0
		.amdhsa_exception_fp_ieee_inexact 0
		.amdhsa_exception_int_div_zero 0
	.end_amdhsa_kernel
	.section	.text._ZN7rocprim17ROCPRIM_400000_NS6detail17trampoline_kernelINS0_14default_configENS1_22reduce_config_selectorIN6thrust23THRUST_200600_302600_NS5tupleIbffNS6_9null_typeES8_S8_S8_S8_S8_S8_EEEEZNS1_11reduce_implILb1ES3_NS6_11hip_rocprim26transform_input_iterator_tIS9_NS6_12zip_iteratorINS7_INS6_17counting_iteratorIiNS6_11use_defaultESG_SG_EENS6_6detail15normal_iteratorINS6_10device_ptrIfEEEES8_S8_S8_S8_S8_S8_S8_S8_EEEE15transform_tupleIifEEEPS9_S9_12reduce_tupleIifEEE10hipError_tPvRmT1_T2_T3_mT4_P12ihipStream_tbEUlT_E1_NS1_11comp_targetILNS1_3genE9ELNS1_11target_archE1100ELNS1_3gpuE3ELNS1_3repE0EEENS1_30default_config_static_selectorELNS0_4arch9wavefront6targetE0EEEvSY_,"axG",@progbits,_ZN7rocprim17ROCPRIM_400000_NS6detail17trampoline_kernelINS0_14default_configENS1_22reduce_config_selectorIN6thrust23THRUST_200600_302600_NS5tupleIbffNS6_9null_typeES8_S8_S8_S8_S8_S8_EEEEZNS1_11reduce_implILb1ES3_NS6_11hip_rocprim26transform_input_iterator_tIS9_NS6_12zip_iteratorINS7_INS6_17counting_iteratorIiNS6_11use_defaultESG_SG_EENS6_6detail15normal_iteratorINS6_10device_ptrIfEEEES8_S8_S8_S8_S8_S8_S8_S8_EEEE15transform_tupleIifEEEPS9_S9_12reduce_tupleIifEEE10hipError_tPvRmT1_T2_T3_mT4_P12ihipStream_tbEUlT_E1_NS1_11comp_targetILNS1_3genE9ELNS1_11target_archE1100ELNS1_3gpuE3ELNS1_3repE0EEENS1_30default_config_static_selectorELNS0_4arch9wavefront6targetE0EEEvSY_,comdat
.Lfunc_end35:
	.size	_ZN7rocprim17ROCPRIM_400000_NS6detail17trampoline_kernelINS0_14default_configENS1_22reduce_config_selectorIN6thrust23THRUST_200600_302600_NS5tupleIbffNS6_9null_typeES8_S8_S8_S8_S8_S8_EEEEZNS1_11reduce_implILb1ES3_NS6_11hip_rocprim26transform_input_iterator_tIS9_NS6_12zip_iteratorINS7_INS6_17counting_iteratorIiNS6_11use_defaultESG_SG_EENS6_6detail15normal_iteratorINS6_10device_ptrIfEEEES8_S8_S8_S8_S8_S8_S8_S8_EEEE15transform_tupleIifEEEPS9_S9_12reduce_tupleIifEEE10hipError_tPvRmT1_T2_T3_mT4_P12ihipStream_tbEUlT_E1_NS1_11comp_targetILNS1_3genE9ELNS1_11target_archE1100ELNS1_3gpuE3ELNS1_3repE0EEENS1_30default_config_static_selectorELNS0_4arch9wavefront6targetE0EEEvSY_, .Lfunc_end35-_ZN7rocprim17ROCPRIM_400000_NS6detail17trampoline_kernelINS0_14default_configENS1_22reduce_config_selectorIN6thrust23THRUST_200600_302600_NS5tupleIbffNS6_9null_typeES8_S8_S8_S8_S8_S8_EEEEZNS1_11reduce_implILb1ES3_NS6_11hip_rocprim26transform_input_iterator_tIS9_NS6_12zip_iteratorINS7_INS6_17counting_iteratorIiNS6_11use_defaultESG_SG_EENS6_6detail15normal_iteratorINS6_10device_ptrIfEEEES8_S8_S8_S8_S8_S8_S8_S8_EEEE15transform_tupleIifEEEPS9_S9_12reduce_tupleIifEEE10hipError_tPvRmT1_T2_T3_mT4_P12ihipStream_tbEUlT_E1_NS1_11comp_targetILNS1_3genE9ELNS1_11target_archE1100ELNS1_3gpuE3ELNS1_3repE0EEENS1_30default_config_static_selectorELNS0_4arch9wavefront6targetE0EEEvSY_
                                        ; -- End function
	.set _ZN7rocprim17ROCPRIM_400000_NS6detail17trampoline_kernelINS0_14default_configENS1_22reduce_config_selectorIN6thrust23THRUST_200600_302600_NS5tupleIbffNS6_9null_typeES8_S8_S8_S8_S8_S8_EEEEZNS1_11reduce_implILb1ES3_NS6_11hip_rocprim26transform_input_iterator_tIS9_NS6_12zip_iteratorINS7_INS6_17counting_iteratorIiNS6_11use_defaultESG_SG_EENS6_6detail15normal_iteratorINS6_10device_ptrIfEEEES8_S8_S8_S8_S8_S8_S8_S8_EEEE15transform_tupleIifEEEPS9_S9_12reduce_tupleIifEEE10hipError_tPvRmT1_T2_T3_mT4_P12ihipStream_tbEUlT_E1_NS1_11comp_targetILNS1_3genE9ELNS1_11target_archE1100ELNS1_3gpuE3ELNS1_3repE0EEENS1_30default_config_static_selectorELNS0_4arch9wavefront6targetE0EEEvSY_.num_vgpr, 0
	.set _ZN7rocprim17ROCPRIM_400000_NS6detail17trampoline_kernelINS0_14default_configENS1_22reduce_config_selectorIN6thrust23THRUST_200600_302600_NS5tupleIbffNS6_9null_typeES8_S8_S8_S8_S8_S8_EEEEZNS1_11reduce_implILb1ES3_NS6_11hip_rocprim26transform_input_iterator_tIS9_NS6_12zip_iteratorINS7_INS6_17counting_iteratorIiNS6_11use_defaultESG_SG_EENS6_6detail15normal_iteratorINS6_10device_ptrIfEEEES8_S8_S8_S8_S8_S8_S8_S8_EEEE15transform_tupleIifEEEPS9_S9_12reduce_tupleIifEEE10hipError_tPvRmT1_T2_T3_mT4_P12ihipStream_tbEUlT_E1_NS1_11comp_targetILNS1_3genE9ELNS1_11target_archE1100ELNS1_3gpuE3ELNS1_3repE0EEENS1_30default_config_static_selectorELNS0_4arch9wavefront6targetE0EEEvSY_.num_agpr, 0
	.set _ZN7rocprim17ROCPRIM_400000_NS6detail17trampoline_kernelINS0_14default_configENS1_22reduce_config_selectorIN6thrust23THRUST_200600_302600_NS5tupleIbffNS6_9null_typeES8_S8_S8_S8_S8_S8_EEEEZNS1_11reduce_implILb1ES3_NS6_11hip_rocprim26transform_input_iterator_tIS9_NS6_12zip_iteratorINS7_INS6_17counting_iteratorIiNS6_11use_defaultESG_SG_EENS6_6detail15normal_iteratorINS6_10device_ptrIfEEEES8_S8_S8_S8_S8_S8_S8_S8_EEEE15transform_tupleIifEEEPS9_S9_12reduce_tupleIifEEE10hipError_tPvRmT1_T2_T3_mT4_P12ihipStream_tbEUlT_E1_NS1_11comp_targetILNS1_3genE9ELNS1_11target_archE1100ELNS1_3gpuE3ELNS1_3repE0EEENS1_30default_config_static_selectorELNS0_4arch9wavefront6targetE0EEEvSY_.numbered_sgpr, 0
	.set _ZN7rocprim17ROCPRIM_400000_NS6detail17trampoline_kernelINS0_14default_configENS1_22reduce_config_selectorIN6thrust23THRUST_200600_302600_NS5tupleIbffNS6_9null_typeES8_S8_S8_S8_S8_S8_EEEEZNS1_11reduce_implILb1ES3_NS6_11hip_rocprim26transform_input_iterator_tIS9_NS6_12zip_iteratorINS7_INS6_17counting_iteratorIiNS6_11use_defaultESG_SG_EENS6_6detail15normal_iteratorINS6_10device_ptrIfEEEES8_S8_S8_S8_S8_S8_S8_S8_EEEE15transform_tupleIifEEEPS9_S9_12reduce_tupleIifEEE10hipError_tPvRmT1_T2_T3_mT4_P12ihipStream_tbEUlT_E1_NS1_11comp_targetILNS1_3genE9ELNS1_11target_archE1100ELNS1_3gpuE3ELNS1_3repE0EEENS1_30default_config_static_selectorELNS0_4arch9wavefront6targetE0EEEvSY_.num_named_barrier, 0
	.set _ZN7rocprim17ROCPRIM_400000_NS6detail17trampoline_kernelINS0_14default_configENS1_22reduce_config_selectorIN6thrust23THRUST_200600_302600_NS5tupleIbffNS6_9null_typeES8_S8_S8_S8_S8_S8_EEEEZNS1_11reduce_implILb1ES3_NS6_11hip_rocprim26transform_input_iterator_tIS9_NS6_12zip_iteratorINS7_INS6_17counting_iteratorIiNS6_11use_defaultESG_SG_EENS6_6detail15normal_iteratorINS6_10device_ptrIfEEEES8_S8_S8_S8_S8_S8_S8_S8_EEEE15transform_tupleIifEEEPS9_S9_12reduce_tupleIifEEE10hipError_tPvRmT1_T2_T3_mT4_P12ihipStream_tbEUlT_E1_NS1_11comp_targetILNS1_3genE9ELNS1_11target_archE1100ELNS1_3gpuE3ELNS1_3repE0EEENS1_30default_config_static_selectorELNS0_4arch9wavefront6targetE0EEEvSY_.private_seg_size, 0
	.set _ZN7rocprim17ROCPRIM_400000_NS6detail17trampoline_kernelINS0_14default_configENS1_22reduce_config_selectorIN6thrust23THRUST_200600_302600_NS5tupleIbffNS6_9null_typeES8_S8_S8_S8_S8_S8_EEEEZNS1_11reduce_implILb1ES3_NS6_11hip_rocprim26transform_input_iterator_tIS9_NS6_12zip_iteratorINS7_INS6_17counting_iteratorIiNS6_11use_defaultESG_SG_EENS6_6detail15normal_iteratorINS6_10device_ptrIfEEEES8_S8_S8_S8_S8_S8_S8_S8_EEEE15transform_tupleIifEEEPS9_S9_12reduce_tupleIifEEE10hipError_tPvRmT1_T2_T3_mT4_P12ihipStream_tbEUlT_E1_NS1_11comp_targetILNS1_3genE9ELNS1_11target_archE1100ELNS1_3gpuE3ELNS1_3repE0EEENS1_30default_config_static_selectorELNS0_4arch9wavefront6targetE0EEEvSY_.uses_vcc, 0
	.set _ZN7rocprim17ROCPRIM_400000_NS6detail17trampoline_kernelINS0_14default_configENS1_22reduce_config_selectorIN6thrust23THRUST_200600_302600_NS5tupleIbffNS6_9null_typeES8_S8_S8_S8_S8_S8_EEEEZNS1_11reduce_implILb1ES3_NS6_11hip_rocprim26transform_input_iterator_tIS9_NS6_12zip_iteratorINS7_INS6_17counting_iteratorIiNS6_11use_defaultESG_SG_EENS6_6detail15normal_iteratorINS6_10device_ptrIfEEEES8_S8_S8_S8_S8_S8_S8_S8_EEEE15transform_tupleIifEEEPS9_S9_12reduce_tupleIifEEE10hipError_tPvRmT1_T2_T3_mT4_P12ihipStream_tbEUlT_E1_NS1_11comp_targetILNS1_3genE9ELNS1_11target_archE1100ELNS1_3gpuE3ELNS1_3repE0EEENS1_30default_config_static_selectorELNS0_4arch9wavefront6targetE0EEEvSY_.uses_flat_scratch, 0
	.set _ZN7rocprim17ROCPRIM_400000_NS6detail17trampoline_kernelINS0_14default_configENS1_22reduce_config_selectorIN6thrust23THRUST_200600_302600_NS5tupleIbffNS6_9null_typeES8_S8_S8_S8_S8_S8_EEEEZNS1_11reduce_implILb1ES3_NS6_11hip_rocprim26transform_input_iterator_tIS9_NS6_12zip_iteratorINS7_INS6_17counting_iteratorIiNS6_11use_defaultESG_SG_EENS6_6detail15normal_iteratorINS6_10device_ptrIfEEEES8_S8_S8_S8_S8_S8_S8_S8_EEEE15transform_tupleIifEEEPS9_S9_12reduce_tupleIifEEE10hipError_tPvRmT1_T2_T3_mT4_P12ihipStream_tbEUlT_E1_NS1_11comp_targetILNS1_3genE9ELNS1_11target_archE1100ELNS1_3gpuE3ELNS1_3repE0EEENS1_30default_config_static_selectorELNS0_4arch9wavefront6targetE0EEEvSY_.has_dyn_sized_stack, 0
	.set _ZN7rocprim17ROCPRIM_400000_NS6detail17trampoline_kernelINS0_14default_configENS1_22reduce_config_selectorIN6thrust23THRUST_200600_302600_NS5tupleIbffNS6_9null_typeES8_S8_S8_S8_S8_S8_EEEEZNS1_11reduce_implILb1ES3_NS6_11hip_rocprim26transform_input_iterator_tIS9_NS6_12zip_iteratorINS7_INS6_17counting_iteratorIiNS6_11use_defaultESG_SG_EENS6_6detail15normal_iteratorINS6_10device_ptrIfEEEES8_S8_S8_S8_S8_S8_S8_S8_EEEE15transform_tupleIifEEEPS9_S9_12reduce_tupleIifEEE10hipError_tPvRmT1_T2_T3_mT4_P12ihipStream_tbEUlT_E1_NS1_11comp_targetILNS1_3genE9ELNS1_11target_archE1100ELNS1_3gpuE3ELNS1_3repE0EEENS1_30default_config_static_selectorELNS0_4arch9wavefront6targetE0EEEvSY_.has_recursion, 0
	.set _ZN7rocprim17ROCPRIM_400000_NS6detail17trampoline_kernelINS0_14default_configENS1_22reduce_config_selectorIN6thrust23THRUST_200600_302600_NS5tupleIbffNS6_9null_typeES8_S8_S8_S8_S8_S8_EEEEZNS1_11reduce_implILb1ES3_NS6_11hip_rocprim26transform_input_iterator_tIS9_NS6_12zip_iteratorINS7_INS6_17counting_iteratorIiNS6_11use_defaultESG_SG_EENS6_6detail15normal_iteratorINS6_10device_ptrIfEEEES8_S8_S8_S8_S8_S8_S8_S8_EEEE15transform_tupleIifEEEPS9_S9_12reduce_tupleIifEEE10hipError_tPvRmT1_T2_T3_mT4_P12ihipStream_tbEUlT_E1_NS1_11comp_targetILNS1_3genE9ELNS1_11target_archE1100ELNS1_3gpuE3ELNS1_3repE0EEENS1_30default_config_static_selectorELNS0_4arch9wavefront6targetE0EEEvSY_.has_indirect_call, 0
	.section	.AMDGPU.csdata,"",@progbits
; Kernel info:
; codeLenInByte = 0
; TotalNumSgprs: 0
; NumVgprs: 0
; ScratchSize: 0
; MemoryBound: 0
; FloatMode: 240
; IeeeMode: 1
; LDSByteSize: 0 bytes/workgroup (compile time only)
; SGPRBlocks: 0
; VGPRBlocks: 0
; NumSGPRsForWavesPerEU: 1
; NumVGPRsForWavesPerEU: 1
; Occupancy: 16
; WaveLimiterHint : 0
; COMPUTE_PGM_RSRC2:SCRATCH_EN: 0
; COMPUTE_PGM_RSRC2:USER_SGPR: 6
; COMPUTE_PGM_RSRC2:TRAP_HANDLER: 0
; COMPUTE_PGM_RSRC2:TGID_X_EN: 1
; COMPUTE_PGM_RSRC2:TGID_Y_EN: 0
; COMPUTE_PGM_RSRC2:TGID_Z_EN: 0
; COMPUTE_PGM_RSRC2:TIDIG_COMP_CNT: 0
	.section	.text._ZN7rocprim17ROCPRIM_400000_NS6detail17trampoline_kernelINS0_14default_configENS1_22reduce_config_selectorIN6thrust23THRUST_200600_302600_NS5tupleIbffNS6_9null_typeES8_S8_S8_S8_S8_S8_EEEEZNS1_11reduce_implILb1ES3_NS6_11hip_rocprim26transform_input_iterator_tIS9_NS6_12zip_iteratorINS7_INS6_17counting_iteratorIiNS6_11use_defaultESG_SG_EENS6_6detail15normal_iteratorINS6_10device_ptrIfEEEES8_S8_S8_S8_S8_S8_S8_S8_EEEE15transform_tupleIifEEEPS9_S9_12reduce_tupleIifEEE10hipError_tPvRmT1_T2_T3_mT4_P12ihipStream_tbEUlT_E1_NS1_11comp_targetILNS1_3genE8ELNS1_11target_archE1030ELNS1_3gpuE2ELNS1_3repE0EEENS1_30default_config_static_selectorELNS0_4arch9wavefront6targetE0EEEvSY_,"axG",@progbits,_ZN7rocprim17ROCPRIM_400000_NS6detail17trampoline_kernelINS0_14default_configENS1_22reduce_config_selectorIN6thrust23THRUST_200600_302600_NS5tupleIbffNS6_9null_typeES8_S8_S8_S8_S8_S8_EEEEZNS1_11reduce_implILb1ES3_NS6_11hip_rocprim26transform_input_iterator_tIS9_NS6_12zip_iteratorINS7_INS6_17counting_iteratorIiNS6_11use_defaultESG_SG_EENS6_6detail15normal_iteratorINS6_10device_ptrIfEEEES8_S8_S8_S8_S8_S8_S8_S8_EEEE15transform_tupleIifEEEPS9_S9_12reduce_tupleIifEEE10hipError_tPvRmT1_T2_T3_mT4_P12ihipStream_tbEUlT_E1_NS1_11comp_targetILNS1_3genE8ELNS1_11target_archE1030ELNS1_3gpuE2ELNS1_3repE0EEENS1_30default_config_static_selectorELNS0_4arch9wavefront6targetE0EEEvSY_,comdat
	.protected	_ZN7rocprim17ROCPRIM_400000_NS6detail17trampoline_kernelINS0_14default_configENS1_22reduce_config_selectorIN6thrust23THRUST_200600_302600_NS5tupleIbffNS6_9null_typeES8_S8_S8_S8_S8_S8_EEEEZNS1_11reduce_implILb1ES3_NS6_11hip_rocprim26transform_input_iterator_tIS9_NS6_12zip_iteratorINS7_INS6_17counting_iteratorIiNS6_11use_defaultESG_SG_EENS6_6detail15normal_iteratorINS6_10device_ptrIfEEEES8_S8_S8_S8_S8_S8_S8_S8_EEEE15transform_tupleIifEEEPS9_S9_12reduce_tupleIifEEE10hipError_tPvRmT1_T2_T3_mT4_P12ihipStream_tbEUlT_E1_NS1_11comp_targetILNS1_3genE8ELNS1_11target_archE1030ELNS1_3gpuE2ELNS1_3repE0EEENS1_30default_config_static_selectorELNS0_4arch9wavefront6targetE0EEEvSY_ ; -- Begin function _ZN7rocprim17ROCPRIM_400000_NS6detail17trampoline_kernelINS0_14default_configENS1_22reduce_config_selectorIN6thrust23THRUST_200600_302600_NS5tupleIbffNS6_9null_typeES8_S8_S8_S8_S8_S8_EEEEZNS1_11reduce_implILb1ES3_NS6_11hip_rocprim26transform_input_iterator_tIS9_NS6_12zip_iteratorINS7_INS6_17counting_iteratorIiNS6_11use_defaultESG_SG_EENS6_6detail15normal_iteratorINS6_10device_ptrIfEEEES8_S8_S8_S8_S8_S8_S8_S8_EEEE15transform_tupleIifEEEPS9_S9_12reduce_tupleIifEEE10hipError_tPvRmT1_T2_T3_mT4_P12ihipStream_tbEUlT_E1_NS1_11comp_targetILNS1_3genE8ELNS1_11target_archE1030ELNS1_3gpuE2ELNS1_3repE0EEENS1_30default_config_static_selectorELNS0_4arch9wavefront6targetE0EEEvSY_
	.globl	_ZN7rocprim17ROCPRIM_400000_NS6detail17trampoline_kernelINS0_14default_configENS1_22reduce_config_selectorIN6thrust23THRUST_200600_302600_NS5tupleIbffNS6_9null_typeES8_S8_S8_S8_S8_S8_EEEEZNS1_11reduce_implILb1ES3_NS6_11hip_rocprim26transform_input_iterator_tIS9_NS6_12zip_iteratorINS7_INS6_17counting_iteratorIiNS6_11use_defaultESG_SG_EENS6_6detail15normal_iteratorINS6_10device_ptrIfEEEES8_S8_S8_S8_S8_S8_S8_S8_EEEE15transform_tupleIifEEEPS9_S9_12reduce_tupleIifEEE10hipError_tPvRmT1_T2_T3_mT4_P12ihipStream_tbEUlT_E1_NS1_11comp_targetILNS1_3genE8ELNS1_11target_archE1030ELNS1_3gpuE2ELNS1_3repE0EEENS1_30default_config_static_selectorELNS0_4arch9wavefront6targetE0EEEvSY_
	.p2align	8
	.type	_ZN7rocprim17ROCPRIM_400000_NS6detail17trampoline_kernelINS0_14default_configENS1_22reduce_config_selectorIN6thrust23THRUST_200600_302600_NS5tupleIbffNS6_9null_typeES8_S8_S8_S8_S8_S8_EEEEZNS1_11reduce_implILb1ES3_NS6_11hip_rocprim26transform_input_iterator_tIS9_NS6_12zip_iteratorINS7_INS6_17counting_iteratorIiNS6_11use_defaultESG_SG_EENS6_6detail15normal_iteratorINS6_10device_ptrIfEEEES8_S8_S8_S8_S8_S8_S8_S8_EEEE15transform_tupleIifEEEPS9_S9_12reduce_tupleIifEEE10hipError_tPvRmT1_T2_T3_mT4_P12ihipStream_tbEUlT_E1_NS1_11comp_targetILNS1_3genE8ELNS1_11target_archE1030ELNS1_3gpuE2ELNS1_3repE0EEENS1_30default_config_static_selectorELNS0_4arch9wavefront6targetE0EEEvSY_,@function
_ZN7rocprim17ROCPRIM_400000_NS6detail17trampoline_kernelINS0_14default_configENS1_22reduce_config_selectorIN6thrust23THRUST_200600_302600_NS5tupleIbffNS6_9null_typeES8_S8_S8_S8_S8_S8_EEEEZNS1_11reduce_implILb1ES3_NS6_11hip_rocprim26transform_input_iterator_tIS9_NS6_12zip_iteratorINS7_INS6_17counting_iteratorIiNS6_11use_defaultESG_SG_EENS6_6detail15normal_iteratorINS6_10device_ptrIfEEEES8_S8_S8_S8_S8_S8_S8_S8_EEEE15transform_tupleIifEEEPS9_S9_12reduce_tupleIifEEE10hipError_tPvRmT1_T2_T3_mT4_P12ihipStream_tbEUlT_E1_NS1_11comp_targetILNS1_3genE8ELNS1_11target_archE1030ELNS1_3gpuE2ELNS1_3repE0EEENS1_30default_config_static_selectorELNS0_4arch9wavefront6targetE0EEEvSY_: ; @_ZN7rocprim17ROCPRIM_400000_NS6detail17trampoline_kernelINS0_14default_configENS1_22reduce_config_selectorIN6thrust23THRUST_200600_302600_NS5tupleIbffNS6_9null_typeES8_S8_S8_S8_S8_S8_EEEEZNS1_11reduce_implILb1ES3_NS6_11hip_rocprim26transform_input_iterator_tIS9_NS6_12zip_iteratorINS7_INS6_17counting_iteratorIiNS6_11use_defaultESG_SG_EENS6_6detail15normal_iteratorINS6_10device_ptrIfEEEES8_S8_S8_S8_S8_S8_S8_S8_EEEE15transform_tupleIifEEEPS9_S9_12reduce_tupleIifEEE10hipError_tPvRmT1_T2_T3_mT4_P12ihipStream_tbEUlT_E1_NS1_11comp_targetILNS1_3genE8ELNS1_11target_archE1030ELNS1_3gpuE2ELNS1_3repE0EEENS1_30default_config_static_selectorELNS0_4arch9wavefront6targetE0EEEvSY_
; %bb.0:
	s_clause 0x3
	s_load_dwordx2 s[28:29], s[4:5], 0x4
	s_load_dwordx8 s[20:27], s[4:5], 0x10
	s_load_dword s30, s[4:5], 0x30
	s_load_dwordx2 s[18:19], s[4:5], 0x34
	s_waitcnt lgkmcnt(0)
	s_cmp_lt_i32 s28, 4
	s_cbranch_scc1 .LBB36_148
; %bb.1:
	s_cmp_gt_i32 s28, 7
	s_cbranch_scc0 .LBB36_149
; %bb.2:
	s_cmp_gt_i32 s28, 15
	s_cbranch_scc0 .LBB36_150
; %bb.3:
	s_cmp_eq_u32 s28, 16
	s_mov_b32 s31, 0
	s_cbranch_scc0 .LBB36_151
; %bb.4:
	s_mov_b32 s7, 0
	s_lshl_b32 s2, s6, 12
	s_mov_b32 s3, s7
	s_lshr_b64 s[0:1], s[24:25], 12
	s_lshl_b64 s[4:5], s[2:3], 2
	s_add_i32 s33, s29, s2
	s_add_u32 s16, s20, s4
	s_addc_u32 s17, s21, s5
	s_cmp_lg_u64 s[0:1], s[6:7]
	s_cbranch_scc0 .LBB36_250
; %bb.5:
	v_lshlrev_b32_e32 v3, 2, v0
	s_abs_i32 s3, s23
	v_add_co_u32 v14, s0, s16, v3
	v_add_co_ci_u32_e64 v16, null, s17, 0, s0
	s_sub_i32 s0, 0, s3
	v_add_co_u32 v1, vcc_lo, 0x800, v14
	v_add_co_ci_u32_e64 v2, null, 0, v16, vcc_lo
	v_add_co_u32 v6, vcc_lo, v14, 0x1000
	v_add_co_ci_u32_e64 v7, null, 0, v16, vcc_lo
	;; [unrolled: 2-line block ×9, first 2 shown]
	s_clause 0x7
	global_load_dword v5, v3, s[16:17]
	global_load_dword v4, v3, s[16:17] offset:1024
	global_load_dword v21, v[1:2], off offset:1024
	global_load_dword v19, v[8:9], off offset:1024
	;; [unrolled: 1-line block ×6, first 2 shown]
	v_add_co_u32 v1, vcc_lo, 0x3800, v14
	v_add_co_ci_u32_e64 v2, null, 0, v16, vcc_lo
	s_clause 0x7
	global_load_dword v22, v[6:7], off offset:-2048
	global_load_dword v20, v[6:7], off
	global_load_dword v18, v[23:24], off offset:-2048
	global_load_dword v16, v[23:24], off
	;; [unrolled: 2-line block ×3, first 2 shown]
	global_load_dword v8, v[1:2], off
	global_load_dword v6, v[1:2], off offset:1024
	v_cvt_f32_u32_e32 v1, s3
	v_add_nc_u32_e32 v12, s33, v0
	v_rcp_iflag_f32_e32 v1, v1
	v_sub_nc_u32_e32 v3, 0, v12
	v_ashrrev_i32_e32 v24, 31, v12
	v_add_nc_u32_e32 v27, 0x300, v12
	v_max_i32_e32 v3, v12, v3
	v_mul_f32_e32 v1, 0x4f7ffffe, v1
	v_cvt_u32_f32_e32 v1, v1
	v_mul_lo_u32 v2, s0, v1
	v_mul_hi_u32 v2, v1, v2
	v_add_nc_u32_e32 v10, v1, v2
	v_add_nc_u32_e32 v1, 0x100, v12
	v_sub_nc_u32_e32 v2, 0xffffff00, v12
	v_mul_hi_u32 v7, v3, v10
	v_max_i32_e32 v2, v1, v2
	v_ashrrev_i32_e32 v1, 31, v1
	v_mul_hi_u32 v23, v2, v10
	v_mul_lo_u32 v7, v7, s3
	v_sub_nc_u32_e32 v3, v3, v7
	v_mul_lo_u32 v7, v23, s3
	v_subrev_nc_u32_e32 v23, s3, v3
	v_cmp_le_u32_e32 vcc_lo, s3, v3
	v_sub_nc_u32_e32 v2, v2, v7
	v_cndmask_b32_e32 v3, v3, v23, vcc_lo
	v_subrev_nc_u32_e32 v7, s3, v2
	v_cmp_le_u32_e32 vcc_lo, s3, v2
	v_subrev_nc_u32_e32 v23, s3, v3
	v_cndmask_b32_e32 v2, v2, v7, vcc_lo
	v_cmp_le_u32_e32 vcc_lo, s3, v3
	v_subrev_nc_u32_e32 v7, s3, v2
	v_cndmask_b32_e32 v3, v3, v23, vcc_lo
	v_cmp_le_u32_e32 vcc_lo, s3, v2
	v_sub_nc_u32_e32 v23, 0xfffffe00, v12
	v_xor_b32_e32 v3, v3, v24
	v_cndmask_b32_e32 v2, v2, v7, vcc_lo
	v_add_nc_u32_e32 v7, 0x200, v12
	v_sub_nc_u32_e32 v3, v3, v24
	v_xor_b32_e32 v2, v2, v1
	v_max_i32_e32 v24, v7, v23
	v_sub_nc_u32_e32 v23, 0xfffffd00, v12
	v_cmp_le_i32_e64 s0, s22, v3
	v_sub_nc_u32_e32 v1, v2, v1
	v_mad_u64_u32 v[2:3], null, v24, v10, 0
	v_max_i32_e32 v26, v27, v23
	v_cmp_le_i32_e64 s1, s22, v1
	v_cmp_gt_i32_e32 vcc_lo, s22, v1
	s_or_b32 s4, s0, s1
                                        ; implicit-def: $sgpr1
	s_and_saveexec_b32 s5, s4
	s_xor_b32 s4, exec_lo, s5
	s_cbranch_execz .LBB36_9
; %bb.6:
	s_mov_b32 s1, -1
	s_and_saveexec_b32 s5, s0
	s_cbranch_execz .LBB36_8
; %bb.7:
	s_waitcnt vmcnt(14)
	v_mov_b32_e32 v5, v4
	s_orn2_b32 s1, vcc_lo, exec_lo
.LBB36_8:
	s_or_b32 exec_lo, exec_lo, s5
                                        ; implicit-def: $vgpr4
.LBB36_9:
	s_or_saveexec_b32 s0, s4
	v_mad_u64_u32 v[1:2], null, v26, v10, 0
	v_add_nc_u32_e32 v23, 0x400, v12
	v_sub_nc_u32_e32 v1, 0xfffffc00, v12
	v_ashrrev_i32_e32 v25, 31, v7
	s_waitcnt vmcnt(15)
	v_mov_b32_e32 v7, v5
	s_xor_b32 exec_lo, exec_lo, s0
	s_cbranch_execz .LBB36_11
; %bb.10:
	s_waitcnt vmcnt(14)
	v_cmp_lt_f32_e32 vcc_lo, v4, v5
	s_or_b32 s1, s1, exec_lo
	v_cndmask_b32_e32 v28, v5, v4, vcc_lo
	v_cmp_lt_f32_e32 vcc_lo, v5, v4
	v_cndmask_b32_e32 v7, v5, v4, vcc_lo
	v_mov_b32_e32 v5, v28
.LBB36_11:
	s_or_b32 exec_lo, exec_lo, s0
	v_mul_lo_u32 v3, v3, s3
	s_mov_b32 s0, -1
	v_sub_nc_u32_e32 v3, v24, v3
	s_waitcnt vmcnt(14)
	v_subrev_nc_u32_e32 v4, s3, v3
	v_cmp_le_u32_e32 vcc_lo, s3, v3
	v_cndmask_b32_e32 v3, v3, v4, vcc_lo
	v_subrev_nc_u32_e32 v4, s3, v3
	v_cmp_le_u32_e32 vcc_lo, s3, v3
	v_cndmask_b32_e32 v3, v3, v4, vcc_lo
	v_xor_b32_e32 v3, v3, v25
	v_sub_nc_u32_e32 v3, v3, v25
	v_max_i32_e32 v25, v23, v1
	v_cmp_gt_i32_e32 vcc_lo, s22, v3
	s_and_b32 s4, s1, vcc_lo
	s_xor_b32 s4, s4, -1
	s_and_saveexec_b32 s5, s4
	s_xor_b32 s4, exec_lo, s5
	s_cbranch_execz .LBB36_15
; %bb.12:
	s_xor_b32 s5, s1, -1
	s_and_saveexec_b32 s1, s5
	s_cbranch_execz .LBB36_14
; %bb.13:
	s_waitcnt vmcnt(7)
	v_mov_b32_e32 v7, v22
	v_mov_b32_e32 v5, v22
	s_orn2_b32 s0, vcc_lo, exec_lo
.LBB36_14:
	s_or_b32 exec_lo, exec_lo, s1
                                        ; implicit-def: $vgpr22
.LBB36_15:
	s_or_saveexec_b32 s1, s4
	v_mad_u64_u32 v[3:4], null, v25, v10, 0
	v_add_nc_u32_e32 v24, 0x500, v12
	v_sub_nc_u32_e32 v1, 0xfffffb00, v12
	v_ashrrev_i32_e32 v3, 31, v27
	s_xor_b32 exec_lo, exec_lo, s1
	s_cbranch_execz .LBB36_17
; %bb.16:
	s_waitcnt vmcnt(7)
	v_cmp_lt_f32_e32 vcc_lo, v22, v5
	s_or_b32 s0, s0, exec_lo
	v_cndmask_b32_e32 v5, v5, v22, vcc_lo
	v_cmp_lt_f32_e32 vcc_lo, v7, v22
	v_cndmask_b32_e32 v7, v7, v22, vcc_lo
.LBB36_17:
	s_or_b32 exec_lo, exec_lo, s1
	v_mul_lo_u32 v2, v2, s3
	s_mov_b32 s1, -1
	v_sub_nc_u32_e32 v2, v26, v2
	v_max_i32_e32 v26, v24, v1
	s_waitcnt vmcnt(7)
	v_subrev_nc_u32_e32 v22, s3, v2
	v_cmp_le_u32_e32 vcc_lo, s3, v2
	v_cndmask_b32_e32 v2, v2, v22, vcc_lo
	v_subrev_nc_u32_e32 v22, s3, v2
	v_cmp_le_u32_e32 vcc_lo, s3, v2
	v_cndmask_b32_e32 v2, v2, v22, vcc_lo
	v_xor_b32_e32 v2, v2, v3
	v_sub_nc_u32_e32 v2, v2, v3
	v_cmp_gt_i32_e32 vcc_lo, s22, v2
	s_and_b32 s4, s0, vcc_lo
	s_xor_b32 s4, s4, -1
	s_and_saveexec_b32 s5, s4
	s_xor_b32 s4, exec_lo, s5
	s_cbranch_execz .LBB36_21
; %bb.18:
	s_xor_b32 s5, s0, -1
	s_and_saveexec_b32 s0, s5
; %bb.19:
	v_mov_b32_e32 v7, v21
	v_mov_b32_e32 v5, v21
	s_orn2_b32 s1, vcc_lo, exec_lo
; %bb.20:
	s_or_b32 exec_lo, exec_lo, s0
                                        ; implicit-def: $vgpr21
.LBB36_21:
	s_or_saveexec_b32 s0, s4
	v_mad_u64_u32 v[1:2], null, v26, v10, 0
	v_add_nc_u32_e32 v22, 0x600, v12
	v_sub_nc_u32_e32 v1, 0xfffffa00, v12
	v_ashrrev_i32_e32 v3, 31, v23
	s_xor_b32 exec_lo, exec_lo, s0
; %bb.22:
	v_cmp_lt_f32_e32 vcc_lo, v21, v5
	s_or_b32 s1, s1, exec_lo
	v_cndmask_b32_e32 v5, v5, v21, vcc_lo
	v_cmp_lt_f32_e32 vcc_lo, v7, v21
	v_cndmask_b32_e32 v7, v7, v21, vcc_lo
; %bb.23:
	s_or_b32 exec_lo, exec_lo, s0
	v_mul_lo_u32 v4, v4, s3
	v_max_i32_e32 v23, v22, v1
	s_mov_b32 s0, -1
	v_sub_nc_u32_e32 v4, v25, v4
	v_subrev_nc_u32_e32 v21, s3, v4
	v_cmp_le_u32_e32 vcc_lo, s3, v4
	v_cndmask_b32_e32 v4, v4, v21, vcc_lo
	v_subrev_nc_u32_e32 v21, s3, v4
	v_cmp_le_u32_e32 vcc_lo, s3, v4
	v_cndmask_b32_e32 v4, v4, v21, vcc_lo
	v_xor_b32_e32 v4, v4, v3
	v_sub_nc_u32_e32 v3, v4, v3
	v_cmp_gt_i32_e32 vcc_lo, s22, v3
	s_and_b32 s4, s1, vcc_lo
	s_xor_b32 s4, s4, -1
	s_and_saveexec_b32 s5, s4
	s_xor_b32 s4, exec_lo, s5
	s_cbranch_execz .LBB36_27
; %bb.24:
	s_xor_b32 s5, s1, -1
	s_and_saveexec_b32 s1, s5
	s_cbranch_execz .LBB36_26
; %bb.25:
	s_waitcnt vmcnt(6)
	v_mov_b32_e32 v7, v20
	v_mov_b32_e32 v5, v20
	s_orn2_b32 s0, vcc_lo, exec_lo
.LBB36_26:
	s_or_b32 exec_lo, exec_lo, s1
                                        ; implicit-def: $vgpr20
.LBB36_27:
	s_or_saveexec_b32 s1, s4
	v_mad_u64_u32 v[3:4], null, v23, v10, 0
	v_add_nc_u32_e32 v21, 0x700, v12
	v_sub_nc_u32_e32 v1, 0xfffff900, v12
	v_ashrrev_i32_e32 v3, 31, v24
	s_xor_b32 exec_lo, exec_lo, s1
	s_cbranch_execz .LBB36_29
; %bb.28:
	s_waitcnt vmcnt(6)
	v_cmp_lt_f32_e32 vcc_lo, v20, v5
	s_or_b32 s0, s0, exec_lo
	v_cndmask_b32_e32 v5, v5, v20, vcc_lo
	v_cmp_lt_f32_e32 vcc_lo, v7, v20
	v_cndmask_b32_e32 v7, v7, v20, vcc_lo
.LBB36_29:
	s_or_b32 exec_lo, exec_lo, s1
	v_mul_lo_u32 v2, v2, s3
	v_max_i32_e32 v24, v21, v1
	s_mov_b32 s1, -1
	v_sub_nc_u32_e32 v2, v26, v2
	s_waitcnt vmcnt(6)
	v_subrev_nc_u32_e32 v20, s3, v2
	v_cmp_le_u32_e32 vcc_lo, s3, v2
	v_cndmask_b32_e32 v2, v2, v20, vcc_lo
	v_subrev_nc_u32_e32 v20, s3, v2
	v_cmp_le_u32_e32 vcc_lo, s3, v2
	v_cndmask_b32_e32 v2, v2, v20, vcc_lo
	v_xor_b32_e32 v2, v2, v3
	v_sub_nc_u32_e32 v2, v2, v3
	v_cmp_gt_i32_e32 vcc_lo, s22, v2
	s_and_b32 s4, s0, vcc_lo
	s_xor_b32 s4, s4, -1
	s_and_saveexec_b32 s5, s4
	s_xor_b32 s4, exec_lo, s5
	s_cbranch_execz .LBB36_33
; %bb.30:
	s_xor_b32 s5, s0, -1
	s_and_saveexec_b32 s0, s5
; %bb.31:
	v_mov_b32_e32 v7, v19
	v_mov_b32_e32 v5, v19
	s_orn2_b32 s1, vcc_lo, exec_lo
; %bb.32:
	s_or_b32 exec_lo, exec_lo, s0
                                        ; implicit-def: $vgpr19
.LBB36_33:
	s_or_saveexec_b32 s0, s4
	v_mad_u64_u32 v[1:2], null, v24, v10, 0
	v_add_nc_u32_e32 v20, 0x800, v12
	v_sub_nc_u32_e32 v1, 0xfffff800, v12
	v_ashrrev_i32_e32 v3, 31, v22
	s_xor_b32 exec_lo, exec_lo, s0
; %bb.34:
	v_cmp_lt_f32_e32 vcc_lo, v19, v5
	s_or_b32 s1, s1, exec_lo
	v_cndmask_b32_e32 v5, v5, v19, vcc_lo
	v_cmp_lt_f32_e32 vcc_lo, v7, v19
	v_cndmask_b32_e32 v7, v7, v19, vcc_lo
; %bb.35:
	s_or_b32 exec_lo, exec_lo, s0
	v_mul_lo_u32 v4, v4, s3
	v_max_i32_e32 v22, v20, v1
	s_mov_b32 s0, -1
	v_sub_nc_u32_e32 v4, v23, v4
	v_subrev_nc_u32_e32 v19, s3, v4
	v_cmp_le_u32_e32 vcc_lo, s3, v4
	v_cndmask_b32_e32 v4, v4, v19, vcc_lo
	v_subrev_nc_u32_e32 v19, s3, v4
	v_cmp_le_u32_e32 vcc_lo, s3, v4
	v_cndmask_b32_e32 v4, v4, v19, vcc_lo
	v_xor_b32_e32 v4, v4, v3
	v_sub_nc_u32_e32 v3, v4, v3
	v_cmp_gt_i32_e32 vcc_lo, s22, v3
	s_and_b32 s4, s1, vcc_lo
	s_xor_b32 s4, s4, -1
	s_and_saveexec_b32 s5, s4
	s_xor_b32 s4, exec_lo, s5
	s_cbranch_execz .LBB36_39
; %bb.36:
	s_xor_b32 s5, s1, -1
	s_and_saveexec_b32 s1, s5
	s_cbranch_execz .LBB36_38
; %bb.37:
	s_waitcnt vmcnt(5)
	v_mov_b32_e32 v7, v18
	v_mov_b32_e32 v5, v18
	s_orn2_b32 s0, vcc_lo, exec_lo
.LBB36_38:
	s_or_b32 exec_lo, exec_lo, s1
                                        ; implicit-def: $vgpr18
.LBB36_39:
	s_or_saveexec_b32 s1, s4
	v_mad_u64_u32 v[3:4], null, v22, v10, 0
	v_add_nc_u32_e32 v19, 0x900, v12
	v_sub_nc_u32_e32 v1, 0xfffff700, v12
	v_ashrrev_i32_e32 v3, 31, v21
	s_xor_b32 exec_lo, exec_lo, s1
	s_cbranch_execz .LBB36_41
; %bb.40:
	s_waitcnt vmcnt(5)
	v_cmp_lt_f32_e32 vcc_lo, v18, v5
	s_or_b32 s0, s0, exec_lo
	v_cndmask_b32_e32 v5, v5, v18, vcc_lo
	v_cmp_lt_f32_e32 vcc_lo, v7, v18
	v_cndmask_b32_e32 v7, v7, v18, vcc_lo
.LBB36_41:
	s_or_b32 exec_lo, exec_lo, s1
	v_mul_lo_u32 v2, v2, s3
	v_max_i32_e32 v21, v19, v1
	s_mov_b32 s1, -1
	v_sub_nc_u32_e32 v2, v24, v2
	s_waitcnt vmcnt(5)
	v_subrev_nc_u32_e32 v18, s3, v2
	v_cmp_le_u32_e32 vcc_lo, s3, v2
	v_cndmask_b32_e32 v2, v2, v18, vcc_lo
	v_subrev_nc_u32_e32 v18, s3, v2
	v_cmp_le_u32_e32 vcc_lo, s3, v2
	v_cndmask_b32_e32 v2, v2, v18, vcc_lo
	v_xor_b32_e32 v2, v2, v3
	v_sub_nc_u32_e32 v2, v2, v3
	v_cmp_gt_i32_e32 vcc_lo, s22, v2
	s_and_b32 s4, s0, vcc_lo
	s_xor_b32 s4, s4, -1
	s_and_saveexec_b32 s5, s4
	s_xor_b32 s4, exec_lo, s5
	s_cbranch_execz .LBB36_45
; %bb.42:
	s_xor_b32 s5, s0, -1
	s_and_saveexec_b32 s0, s5
; %bb.43:
	v_mov_b32_e32 v7, v17
	v_mov_b32_e32 v5, v17
	s_orn2_b32 s1, vcc_lo, exec_lo
; %bb.44:
	s_or_b32 exec_lo, exec_lo, s0
                                        ; implicit-def: $vgpr17
.LBB36_45:
	s_or_saveexec_b32 s0, s4
	v_mad_u64_u32 v[1:2], null, v21, v10, 0
	v_add_nc_u32_e32 v18, 0xa00, v12
	v_sub_nc_u32_e32 v1, 0xfffff600, v12
	v_ashrrev_i32_e32 v3, 31, v20
	s_xor_b32 exec_lo, exec_lo, s0
; %bb.46:
	v_cmp_lt_f32_e32 vcc_lo, v17, v5
	s_or_b32 s1, s1, exec_lo
	v_cndmask_b32_e32 v5, v5, v17, vcc_lo
	v_cmp_lt_f32_e32 vcc_lo, v7, v17
	v_cndmask_b32_e32 v7, v7, v17, vcc_lo
; %bb.47:
	s_or_b32 exec_lo, exec_lo, s0
	v_mul_lo_u32 v4, v4, s3
	v_max_i32_e32 v20, v18, v1
	s_mov_b32 s0, -1
	v_sub_nc_u32_e32 v4, v22, v4
	v_subrev_nc_u32_e32 v17, s3, v4
	v_cmp_le_u32_e32 vcc_lo, s3, v4
	v_cndmask_b32_e32 v4, v4, v17, vcc_lo
	v_subrev_nc_u32_e32 v17, s3, v4
	v_cmp_le_u32_e32 vcc_lo, s3, v4
	v_cndmask_b32_e32 v4, v4, v17, vcc_lo
	v_xor_b32_e32 v4, v4, v3
	v_sub_nc_u32_e32 v3, v4, v3
	v_cmp_gt_i32_e32 vcc_lo, s22, v3
	s_and_b32 s4, s1, vcc_lo
	s_xor_b32 s4, s4, -1
	s_and_saveexec_b32 s5, s4
	s_xor_b32 s4, exec_lo, s5
	s_cbranch_execz .LBB36_51
; %bb.48:
	s_xor_b32 s5, s1, -1
	s_and_saveexec_b32 s1, s5
	s_cbranch_execz .LBB36_50
; %bb.49:
	s_waitcnt vmcnt(4)
	v_mov_b32_e32 v7, v16
	v_mov_b32_e32 v5, v16
	s_orn2_b32 s0, vcc_lo, exec_lo
.LBB36_50:
	s_or_b32 exec_lo, exec_lo, s1
                                        ; implicit-def: $vgpr16
.LBB36_51:
	s_or_saveexec_b32 s1, s4
	v_mad_u64_u32 v[3:4], null, v20, v10, 0
	v_add_nc_u32_e32 v17, 0xb00, v12
	v_sub_nc_u32_e32 v1, 0xfffff500, v12
	v_ashrrev_i32_e32 v3, 31, v19
	s_xor_b32 exec_lo, exec_lo, s1
	s_cbranch_execz .LBB36_53
; %bb.52:
	s_waitcnt vmcnt(4)
	v_cmp_lt_f32_e32 vcc_lo, v16, v5
	s_or_b32 s0, s0, exec_lo
	v_cndmask_b32_e32 v5, v5, v16, vcc_lo
	v_cmp_lt_f32_e32 vcc_lo, v7, v16
	v_cndmask_b32_e32 v7, v7, v16, vcc_lo
.LBB36_53:
	s_or_b32 exec_lo, exec_lo, s1
	v_mul_lo_u32 v2, v2, s3
	v_max_i32_e32 v19, v17, v1
	s_mov_b32 s1, -1
	v_sub_nc_u32_e32 v2, v21, v2
	s_waitcnt vmcnt(4)
	v_subrev_nc_u32_e32 v16, s3, v2
	v_cmp_le_u32_e32 vcc_lo, s3, v2
	v_cndmask_b32_e32 v2, v2, v16, vcc_lo
	v_subrev_nc_u32_e32 v16, s3, v2
	v_cmp_le_u32_e32 vcc_lo, s3, v2
	v_cndmask_b32_e32 v2, v2, v16, vcc_lo
	v_xor_b32_e32 v2, v2, v3
	v_sub_nc_u32_e32 v2, v2, v3
	v_cmp_gt_i32_e32 vcc_lo, s22, v2
	s_and_b32 s4, s0, vcc_lo
	s_xor_b32 s4, s4, -1
	s_and_saveexec_b32 s5, s4
	s_xor_b32 s4, exec_lo, s5
	s_cbranch_execz .LBB36_57
; %bb.54:
	s_xor_b32 s5, s0, -1
	s_and_saveexec_b32 s0, s5
; %bb.55:
	v_mov_b32_e32 v7, v15
	v_mov_b32_e32 v5, v15
	s_orn2_b32 s1, vcc_lo, exec_lo
; %bb.56:
	s_or_b32 exec_lo, exec_lo, s0
                                        ; implicit-def: $vgpr15
.LBB36_57:
	s_or_saveexec_b32 s0, s4
	v_mad_u64_u32 v[1:2], null, v19, v10, 0
	v_add_nc_u32_e32 v16, 0xc00, v12
	v_sub_nc_u32_e32 v1, 0xfffff400, v12
	v_ashrrev_i32_e32 v3, 31, v18
	s_xor_b32 exec_lo, exec_lo, s0
; %bb.58:
	v_cmp_lt_f32_e32 vcc_lo, v15, v5
	s_or_b32 s1, s1, exec_lo
	v_cndmask_b32_e32 v5, v5, v15, vcc_lo
	v_cmp_lt_f32_e32 vcc_lo, v7, v15
	v_cndmask_b32_e32 v7, v7, v15, vcc_lo
; %bb.59:
	s_or_b32 exec_lo, exec_lo, s0
	v_mul_lo_u32 v4, v4, s3
	v_max_i32_e32 v18, v16, v1
	s_mov_b32 s0, -1
	v_sub_nc_u32_e32 v4, v20, v4
	v_subrev_nc_u32_e32 v15, s3, v4
	v_cmp_le_u32_e32 vcc_lo, s3, v4
	v_cndmask_b32_e32 v4, v4, v15, vcc_lo
	v_subrev_nc_u32_e32 v15, s3, v4
	v_cmp_le_u32_e32 vcc_lo, s3, v4
	v_cndmask_b32_e32 v4, v4, v15, vcc_lo
	v_xor_b32_e32 v4, v4, v3
	v_sub_nc_u32_e32 v3, v4, v3
	v_cmp_gt_i32_e32 vcc_lo, s22, v3
	s_and_b32 s4, s1, vcc_lo
	s_xor_b32 s4, s4, -1
	s_and_saveexec_b32 s5, s4
	s_xor_b32 s4, exec_lo, s5
	s_cbranch_execz .LBB36_63
; %bb.60:
	s_xor_b32 s5, s1, -1
	s_and_saveexec_b32 s1, s5
	s_cbranch_execz .LBB36_62
; %bb.61:
	s_waitcnt vmcnt(3)
	v_mov_b32_e32 v7, v14
	v_mov_b32_e32 v5, v14
	s_orn2_b32 s0, vcc_lo, exec_lo
.LBB36_62:
	s_or_b32 exec_lo, exec_lo, s1
                                        ; implicit-def: $vgpr14
.LBB36_63:
	s_or_saveexec_b32 s1, s4
	v_mad_u64_u32 v[3:4], null, v18, v10, 0
	v_add_nc_u32_e32 v15, 0xd00, v12
	v_sub_nc_u32_e32 v1, 0xfffff300, v12
	v_ashrrev_i32_e32 v3, 31, v17
	s_xor_b32 exec_lo, exec_lo, s1
	s_cbranch_execz .LBB36_65
; %bb.64:
	s_waitcnt vmcnt(3)
	v_cmp_lt_f32_e32 vcc_lo, v14, v5
	s_or_b32 s0, s0, exec_lo
	v_cndmask_b32_e32 v5, v5, v14, vcc_lo
	v_cmp_lt_f32_e32 vcc_lo, v7, v14
	v_cndmask_b32_e32 v7, v7, v14, vcc_lo
.LBB36_65:
	s_or_b32 exec_lo, exec_lo, s1
	v_mul_lo_u32 v2, v2, s3
	v_max_i32_e32 v17, v15, v1
	s_mov_b32 s1, -1
	v_sub_nc_u32_e32 v2, v19, v2
	s_waitcnt vmcnt(3)
	v_subrev_nc_u32_e32 v14, s3, v2
	v_cmp_le_u32_e32 vcc_lo, s3, v2
	v_cndmask_b32_e32 v2, v2, v14, vcc_lo
	v_subrev_nc_u32_e32 v14, s3, v2
	v_cmp_le_u32_e32 vcc_lo, s3, v2
	v_cndmask_b32_e32 v2, v2, v14, vcc_lo
	v_xor_b32_e32 v2, v2, v3
	v_sub_nc_u32_e32 v2, v2, v3
	v_cmp_gt_i32_e32 vcc_lo, s22, v2
	s_and_b32 s4, s0, vcc_lo
	s_xor_b32 s4, s4, -1
	s_and_saveexec_b32 s5, s4
	s_xor_b32 s4, exec_lo, s5
	s_cbranch_execz .LBB36_69
; %bb.66:
	s_xor_b32 s5, s0, -1
	s_and_saveexec_b32 s0, s5
; %bb.67:
	v_mov_b32_e32 v7, v13
	v_mov_b32_e32 v5, v13
	s_orn2_b32 s1, vcc_lo, exec_lo
; %bb.68:
	s_or_b32 exec_lo, exec_lo, s0
                                        ; implicit-def: $vgpr13
.LBB36_69:
	s_or_saveexec_b32 s0, s4
	v_mad_u64_u32 v[1:2], null, v17, v10, 0
	v_add_nc_u32_e32 v14, 0xe00, v12
	v_sub_nc_u32_e32 v1, 0xfffff200, v12
	v_ashrrev_i32_e32 v3, 31, v16
	s_xor_b32 exec_lo, exec_lo, s0
; %bb.70:
	v_cmp_lt_f32_e32 vcc_lo, v13, v5
	s_or_b32 s1, s1, exec_lo
	v_cndmask_b32_e32 v5, v5, v13, vcc_lo
	v_cmp_lt_f32_e32 vcc_lo, v7, v13
	v_cndmask_b32_e32 v7, v7, v13, vcc_lo
; %bb.71:
	s_or_b32 exec_lo, exec_lo, s0
	v_mul_lo_u32 v4, v4, s3
	s_mov_b32 s0, -1
	v_sub_nc_u32_e32 v4, v18, v4
	v_subrev_nc_u32_e32 v13, s3, v4
	v_cmp_le_u32_e32 vcc_lo, s3, v4
	v_cndmask_b32_e32 v4, v4, v13, vcc_lo
	v_subrev_nc_u32_e32 v13, s3, v4
	v_cmp_le_u32_e32 vcc_lo, s3, v4
	v_cndmask_b32_e32 v4, v4, v13, vcc_lo
	v_max_i32_e32 v13, v14, v1
	v_xor_b32_e32 v4, v4, v3
	v_sub_nc_u32_e32 v3, v4, v3
	v_cmp_gt_i32_e32 vcc_lo, s22, v3
	s_and_b32 s4, s1, vcc_lo
	s_xor_b32 s4, s4, -1
	s_and_saveexec_b32 s5, s4
	s_xor_b32 s4, exec_lo, s5
	s_cbranch_execz .LBB36_75
; %bb.72:
	s_xor_b32 s5, s1, -1
	s_and_saveexec_b32 s1, s5
	s_cbranch_execz .LBB36_74
; %bb.73:
	s_waitcnt vmcnt(2)
	v_mov_b32_e32 v7, v11
	v_mov_b32_e32 v5, v11
	s_orn2_b32 s0, vcc_lo, exec_lo
.LBB36_74:
	s_or_b32 exec_lo, exec_lo, s1
                                        ; implicit-def: $vgpr11
.LBB36_75:
	s_or_saveexec_b32 s1, s4
	v_mad_u64_u32 v[3:4], null, v13, v10, 0
	v_add_nc_u32_e32 v3, 0xf00, v12
	v_sub_nc_u32_e32 v1, 0xfffff100, v12
	v_ashrrev_i32_e32 v12, 31, v15
	s_xor_b32 exec_lo, exec_lo, s1
	s_cbranch_execz .LBB36_77
; %bb.76:
	s_waitcnt vmcnt(2)
	v_cmp_lt_f32_e32 vcc_lo, v11, v5
	s_or_b32 s0, s0, exec_lo
	v_cndmask_b32_e32 v5, v5, v11, vcc_lo
	v_cmp_lt_f32_e32 vcc_lo, v7, v11
	v_cndmask_b32_e32 v7, v7, v11, vcc_lo
.LBB36_77:
	s_or_b32 exec_lo, exec_lo, s1
	v_mul_lo_u32 v2, v2, s3
	s_mov_b32 s1, -1
	v_sub_nc_u32_e32 v2, v17, v2
	s_waitcnt vmcnt(2)
	v_subrev_nc_u32_e32 v11, s3, v2
	v_cmp_le_u32_e32 vcc_lo, s3, v2
	v_cndmask_b32_e32 v2, v2, v11, vcc_lo
	v_subrev_nc_u32_e32 v11, s3, v2
	v_cmp_le_u32_e32 vcc_lo, s3, v2
	v_cndmask_b32_e32 v2, v2, v11, vcc_lo
	v_max_i32_e32 v11, v3, v1
	v_xor_b32_e32 v2, v2, v12
	v_sub_nc_u32_e32 v2, v2, v12
	v_cmp_gt_i32_e32 vcc_lo, s22, v2
	s_and_b32 s4, s0, vcc_lo
	s_xor_b32 s4, s4, -1
	s_and_saveexec_b32 s5, s4
	s_xor_b32 s4, exec_lo, s5
	s_cbranch_execz .LBB36_81
; %bb.78:
	s_xor_b32 s5, s0, -1
	s_and_saveexec_b32 s0, s5
; %bb.79:
	v_mov_b32_e32 v7, v9
	v_mov_b32_e32 v5, v9
	s_orn2_b32 s1, vcc_lo, exec_lo
; %bb.80:
	s_or_b32 exec_lo, exec_lo, s0
                                        ; implicit-def: $vgpr9
.LBB36_81:
	s_or_saveexec_b32 s0, s4
	v_mad_u64_u32 v[1:2], null, v11, v10, 0
	v_ashrrev_i32_e32 v1, 31, v14
	s_xor_b32 exec_lo, exec_lo, s0
; %bb.82:
	v_cmp_lt_f32_e32 vcc_lo, v9, v5
	s_or_b32 s1, s1, exec_lo
	v_cndmask_b32_e32 v5, v5, v9, vcc_lo
	v_cmp_lt_f32_e32 vcc_lo, v7, v9
	v_cndmask_b32_e32 v7, v7, v9, vcc_lo
; %bb.83:
	s_or_b32 exec_lo, exec_lo, s0
	v_mul_lo_u32 v4, v4, s3
	s_mov_b32 s0, -1
	v_sub_nc_u32_e32 v4, v13, v4
	v_subrev_nc_u32_e32 v9, s3, v4
	v_cmp_le_u32_e32 vcc_lo, s3, v4
	v_cndmask_b32_e32 v4, v4, v9, vcc_lo
	v_subrev_nc_u32_e32 v9, s3, v4
	v_cmp_le_u32_e32 vcc_lo, s3, v4
	v_cndmask_b32_e32 v4, v4, v9, vcc_lo
	v_xor_b32_e32 v4, v4, v1
	v_sub_nc_u32_e32 v1, v4, v1
	v_cmp_gt_i32_e32 vcc_lo, s22, v1
	s_and_b32 s4, s1, vcc_lo
	s_xor_b32 s4, s4, -1
	s_and_saveexec_b32 s5, s4
	s_xor_b32 s4, exec_lo, s5
	s_cbranch_execz .LBB36_87
; %bb.84:
	s_xor_b32 s5, s1, -1
	s_and_saveexec_b32 s1, s5
	s_cbranch_execz .LBB36_86
; %bb.85:
	s_waitcnt vmcnt(1)
	v_mov_b32_e32 v7, v8
	v_mov_b32_e32 v5, v8
	s_orn2_b32 s0, vcc_lo, exec_lo
.LBB36_86:
	s_or_b32 exec_lo, exec_lo, s1
                                        ; implicit-def: $vgpr8
.LBB36_87:
	s_or_saveexec_b32 s1, s4
	v_ashrrev_i32_e32 v1, 31, v3
	s_xor_b32 exec_lo, exec_lo, s1
	s_cbranch_execz .LBB36_89
; %bb.88:
	s_waitcnt vmcnt(1)
	v_cmp_lt_f32_e32 vcc_lo, v8, v5
	s_or_b32 s0, s0, exec_lo
	v_cndmask_b32_e32 v5, v5, v8, vcc_lo
	v_cmp_lt_f32_e32 vcc_lo, v7, v8
	v_cndmask_b32_e32 v7, v7, v8, vcc_lo
.LBB36_89:
	s_or_b32 exec_lo, exec_lo, s1
	v_mul_lo_u32 v2, v2, s3
	v_sub_nc_u32_e32 v2, v11, v2
	v_subrev_nc_u32_e32 v3, s3, v2
	v_cmp_le_u32_e32 vcc_lo, s3, v2
	v_cndmask_b32_e32 v2, v2, v3, vcc_lo
	v_subrev_nc_u32_e32 v3, s3, v2
	v_cmp_le_u32_e32 vcc_lo, s3, v2
	v_cndmask_b32_e32 v2, v2, v3, vcc_lo
	v_xor_b32_e32 v2, v2, v1
	v_sub_nc_u32_e32 v1, v2, v1
	v_cmp_gt_i32_e32 vcc_lo, s22, v1
                                        ; implicit-def: $vgpr1
	s_and_b32 s1, s0, vcc_lo
	s_xor_b32 s1, s1, -1
	s_and_saveexec_b32 s3, s1
	s_xor_b32 s1, exec_lo, s3
	s_cbranch_execz .LBB36_93
; %bb.90:
	v_mov_b32_e32 v1, 1
	s_xor_b32 s3, s0, -1
	s_and_saveexec_b32 s0, s3
	s_cbranch_execz .LBB36_92
; %bb.91:
	v_cndmask_b32_e64 v1, 0, 1, vcc_lo
	s_waitcnt vmcnt(0)
	v_mov_b32_e32 v7, v6
	v_mov_b32_e32 v5, v6
.LBB36_92:
	s_or_b32 exec_lo, exec_lo, s0
                                        ; implicit-def: $vgpr6
.LBB36_93:
	s_andn2_saveexec_b32 s0, s1
	s_cbranch_execz .LBB36_95
; %bb.94:
	s_waitcnt vmcnt(0)
	v_cmp_lt_f32_e32 vcc_lo, v6, v5
	v_mov_b32_e32 v1, 1
	v_cndmask_b32_e32 v5, v5, v6, vcc_lo
	v_cmp_lt_f32_e32 vcc_lo, v7, v6
	v_cndmask_b32_e32 v7, v7, v6, vcc_lo
.LBB36_95:
	s_or_b32 exec_lo, exec_lo, s0
	v_and_b32_e32 v3, 0xff, v1
	v_and_b32_e32 v1, 1, v1
                                        ; implicit-def: $vgpr6
	v_mov_b32_dpp v2, v3 quad_perm:[1,0,3,2] row_mask:0xf bank_mask:0xf
	v_cmp_eq_u32_e64 s0, 1, v1
	v_mov_b32_dpp v1, v5 quad_perm:[1,0,3,2] row_mask:0xf bank_mask:0xf
	v_and_b32_e32 v2, 1, v2
	v_cmp_eq_u32_e32 vcc_lo, 1, v2
	v_mov_b32_dpp v2, v7 quad_perm:[1,0,3,2] row_mask:0xf bank_mask:0xf
	s_and_b32 s0, vcc_lo, s0
	s_xor_b32 s0, s0, -1
	s_and_saveexec_b32 s1, s0
	s_xor_b32 s0, exec_lo, s1
	s_cbranch_execz .LBB36_99
; %bb.96:
	s_waitcnt vmcnt(0)
	v_mov_b32_e32 v6, 1
	s_xor_b32 s3, vcc_lo, -1
	s_and_saveexec_b32 s1, s3
; %bb.97:
	v_mov_b32_e32 v2, v7
	v_mov_b32_e32 v1, v5
	;; [unrolled: 1-line block ×3, first 2 shown]
; %bb.98:
	s_or_b32 exec_lo, exec_lo, s1
                                        ; implicit-def: $vgpr5
                                        ; implicit-def: $vgpr7
.LBB36_99:
	s_andn2_saveexec_b32 s0, s0
	s_cbranch_execz .LBB36_101
; %bb.100:
	v_cmp_lt_f32_e32 vcc_lo, v5, v1
	s_waitcnt vmcnt(0)
	v_mov_b32_e32 v6, 1
	v_cndmask_b32_e32 v1, v1, v5, vcc_lo
	v_cmp_gt_f32_e32 vcc_lo, v7, v2
	v_cndmask_b32_e32 v2, v2, v7, vcc_lo
.LBB36_101:
	s_or_b32 exec_lo, exec_lo, s0
	s_waitcnt vmcnt(0)
	v_mov_b32_dpp v3, v6 quad_perm:[2,3,0,1] row_mask:0xf bank_mask:0xf
	v_and_b32_e32 v4, v3, v6
	v_and_b32_e32 v5, 1, v3
	v_mov_b32_dpp v3, v1 quad_perm:[2,3,0,1] row_mask:0xf bank_mask:0xf
	v_and_b32_e32 v7, 1, v4
	v_mov_b32_dpp v4, v2 quad_perm:[2,3,0,1] row_mask:0xf bank_mask:0xf
	v_cmp_ne_u32_e32 vcc_lo, 1, v5
                                        ; implicit-def: $vgpr5
	v_cmp_ne_u32_e64 s0, 1, v7
	s_and_saveexec_b32 s1, s0
	s_xor_b32 s0, exec_lo, s1
	s_cbranch_execz .LBB36_105
; %bb.102:
	v_mov_b32_e32 v5, 1
	s_and_saveexec_b32 s1, vcc_lo
; %bb.103:
	v_mov_b32_e32 v4, v2
	v_mov_b32_e32 v3, v1
	;; [unrolled: 1-line block ×3, first 2 shown]
; %bb.104:
	s_or_b32 exec_lo, exec_lo, s1
                                        ; implicit-def: $vgpr1
                                        ; implicit-def: $vgpr2
.LBB36_105:
	s_andn2_saveexec_b32 s0, s0
; %bb.106:
	v_cmp_lt_f32_e32 vcc_lo, v1, v3
	v_mov_b32_e32 v5, 1
	v_cndmask_b32_e32 v3, v3, v1, vcc_lo
	v_cmp_gt_f32_e32 vcc_lo, v2, v4
	v_cndmask_b32_e32 v4, v4, v2, vcc_lo
; %bb.107:
	s_or_b32 exec_lo, exec_lo, s0
	v_mov_b32_dpp v1, v5 row_ror:4 row_mask:0xf bank_mask:0xf
	v_and_b32_e32 v2, v1, v5
	v_and_b32_e32 v6, 1, v1
	v_mov_b32_dpp v1, v3 row_ror:4 row_mask:0xf bank_mask:0xf
	v_and_b32_e32 v7, 1, v2
	v_mov_b32_dpp v2, v4 row_ror:4 row_mask:0xf bank_mask:0xf
	v_cmp_ne_u32_e32 vcc_lo, 1, v6
                                        ; implicit-def: $vgpr6
	v_cmp_ne_u32_e64 s0, 1, v7
	s_and_saveexec_b32 s1, s0
	s_xor_b32 s0, exec_lo, s1
	s_cbranch_execz .LBB36_111
; %bb.108:
	v_mov_b32_e32 v6, 1
	s_and_saveexec_b32 s1, vcc_lo
; %bb.109:
	v_mov_b32_e32 v2, v4
	v_mov_b32_e32 v1, v3
	;; [unrolled: 1-line block ×3, first 2 shown]
; %bb.110:
	s_or_b32 exec_lo, exec_lo, s1
                                        ; implicit-def: $vgpr3
                                        ; implicit-def: $vgpr4
.LBB36_111:
	s_andn2_saveexec_b32 s0, s0
; %bb.112:
	v_cmp_lt_f32_e32 vcc_lo, v3, v1
	v_mov_b32_e32 v6, 1
	v_cndmask_b32_e32 v1, v1, v3, vcc_lo
	v_cmp_gt_f32_e32 vcc_lo, v4, v2
	v_cndmask_b32_e32 v2, v2, v4, vcc_lo
; %bb.113:
	s_or_b32 exec_lo, exec_lo, s0
	v_mov_b32_dpp v3, v6 row_ror:8 row_mask:0xf bank_mask:0xf
	v_and_b32_e32 v4, v3, v6
	v_and_b32_e32 v5, 1, v3
	v_mov_b32_dpp v3, v1 row_ror:8 row_mask:0xf bank_mask:0xf
	v_and_b32_e32 v7, 1, v4
	v_mov_b32_dpp v4, v2 row_ror:8 row_mask:0xf bank_mask:0xf
	v_cmp_ne_u32_e32 vcc_lo, 1, v5
                                        ; implicit-def: $vgpr5
	v_cmp_ne_u32_e64 s0, 1, v7
	s_and_saveexec_b32 s1, s0
	s_xor_b32 s0, exec_lo, s1
	s_cbranch_execz .LBB36_117
; %bb.114:
	v_mov_b32_e32 v5, 1
	s_and_saveexec_b32 s1, vcc_lo
; %bb.115:
	v_mov_b32_e32 v4, v2
	v_mov_b32_e32 v3, v1
	;; [unrolled: 1-line block ×3, first 2 shown]
; %bb.116:
	s_or_b32 exec_lo, exec_lo, s1
                                        ; implicit-def: $vgpr1
                                        ; implicit-def: $vgpr2
.LBB36_117:
	s_andn2_saveexec_b32 s0, s0
; %bb.118:
	v_cmp_lt_f32_e32 vcc_lo, v1, v3
	v_mov_b32_e32 v5, 1
	v_cndmask_b32_e32 v3, v3, v1, vcc_lo
	v_cmp_gt_f32_e32 vcc_lo, v2, v4
	v_cndmask_b32_e32 v4, v4, v2, vcc_lo
; %bb.119:
	s_or_b32 exec_lo, exec_lo, s0
	ds_swizzle_b32 v6, v5 offset:swizzle(BROADCAST,32,15)
	ds_swizzle_b32 v1, v3 offset:swizzle(BROADCAST,32,15)
	;; [unrolled: 1-line block ×3, first 2 shown]
	s_waitcnt lgkmcnt(2)
	v_and_b32_e32 v7, v6, v5
	v_and_b32_e32 v6, 1, v6
	v_and_b32_e32 v7, 1, v7
	v_cmp_ne_u32_e32 vcc_lo, 1, v6
                                        ; implicit-def: $vgpr6
	v_cmp_ne_u32_e64 s0, 1, v7
	s_and_saveexec_b32 s1, s0
	s_xor_b32 s0, exec_lo, s1
	s_cbranch_execz .LBB36_123
; %bb.120:
	v_mov_b32_e32 v6, 1
	s_and_saveexec_b32 s1, vcc_lo
	s_cbranch_execz .LBB36_122
; %bb.121:
	s_waitcnt lgkmcnt(0)
	v_mov_b32_e32 v2, v4
	v_mov_b32_e32 v1, v3
	;; [unrolled: 1-line block ×3, first 2 shown]
.LBB36_122:
	s_or_b32 exec_lo, exec_lo, s1
                                        ; implicit-def: $vgpr3
                                        ; implicit-def: $vgpr4
.LBB36_123:
	s_andn2_saveexec_b32 s0, s0
	s_cbranch_execz .LBB36_125
; %bb.124:
	s_waitcnt lgkmcnt(1)
	v_cmp_lt_f32_e32 vcc_lo, v3, v1
	v_mov_b32_e32 v6, 1
	v_cndmask_b32_e32 v1, v1, v3, vcc_lo
	s_waitcnt lgkmcnt(0)
	v_cmp_gt_f32_e32 vcc_lo, v4, v2
	v_cndmask_b32_e32 v2, v2, v4, vcc_lo
.LBB36_125:
	s_or_b32 exec_lo, exec_lo, s0
	v_mov_b32_e32 v3, 0
	s_mov_b32 s0, exec_lo
	ds_bpermute_b32 v5, v3, v6 offset:124
	s_waitcnt lgkmcnt(2)
	ds_bpermute_b32 v1, v3, v1 offset:124
	s_waitcnt lgkmcnt(2)
	ds_bpermute_b32 v2, v3, v2 offset:124
	v_mbcnt_lo_u32_b32 v3, -1, 0
	v_cmpx_eq_u32_e32 0, v3
	s_cbranch_execz .LBB36_127
; %bb.126:
	v_lshrrev_b32_e32 v4, 5, v0
	v_mul_u32_u24_e32 v4, 12, v4
	s_waitcnt lgkmcnt(2)
	ds_write_b8 v4, v5 offset:96
	s_waitcnt lgkmcnt(1)
	ds_write2_b32 v4, v1, v2 offset0:25 offset1:26
.LBB36_127:
	s_or_b32 exec_lo, exec_lo, s0
	s_mov_b32 s0, exec_lo
	s_waitcnt lgkmcnt(0)
	s_barrier
	buffer_gl0_inv
	v_cmpx_gt_u32_e32 32, v0
	s_cbranch_execz .LBB36_147
; %bb.128:
	v_and_b32_e32 v6, 7, v3
	s_mov_b32 s1, exec_lo
	v_mul_u32_u24_e32 v1, 12, v6
	v_cmp_ne_u32_e32 vcc_lo, 7, v6
	ds_read_u8 v9, v1 offset:96
	v_add_co_ci_u32_e64 v4, null, 0, v3, vcc_lo
	ds_read2_b32 v[1:2], v1 offset0:25 offset1:26
	v_lshlrev_b32_e32 v4, 2, v4
	s_waitcnt lgkmcnt(1)
	v_and_b32_e32 v5, 0xff, v9
	ds_bpermute_b32 v7, v4, v5
	s_waitcnt lgkmcnt(1)
	ds_bpermute_b32 v5, v4, v1
	ds_bpermute_b32 v4, v4, v2
	s_waitcnt lgkmcnt(2)
	v_and_b32_e32 v8, v9, v7
	v_and_b32_e32 v8, 1, v8
	v_cmpx_eq_u32_e32 1, v8
	s_xor_b32 s1, exec_lo, s1
	s_cbranch_execz .LBB36_130
; %bb.129:
	s_waitcnt lgkmcnt(1)
	v_cmp_gt_f32_e32 vcc_lo, v1, v5
                                        ; implicit-def: $vgpr7
                                        ; implicit-def: $vgpr9
	v_cndmask_b32_e32 v5, v1, v5, vcc_lo
	s_waitcnt lgkmcnt(0)
	v_cmp_lt_f32_e32 vcc_lo, v2, v4
	v_cndmask_b32_e32 v4, v2, v4, vcc_lo
                                        ; implicit-def: $vgpr2
.LBB36_130:
	s_or_saveexec_b32 s1, s1
	v_mov_b32_e32 v8, 1
	s_xor_b32 exec_lo, exec_lo, s1
	s_cbranch_execz .LBB36_134
; %bb.131:
	v_and_b32_e32 v8, 1, v9
	s_mov_b32 s3, exec_lo
	v_cmpx_eq_u32_e32 1, v8
	s_cbranch_execz .LBB36_133
; %bb.132:
	v_mov_b32_e32 v7, 1
	s_waitcnt lgkmcnt(0)
	v_mov_b32_e32 v4, v2
	v_mov_b32_e32 v5, v1
.LBB36_133:
	s_or_b32 exec_lo, exec_lo, s3
	v_mov_b32_e32 v8, v7
.LBB36_134:
	s_or_b32 exec_lo, exec_lo, s1
	v_cmp_gt_u32_e32 vcc_lo, 6, v6
	v_and_b32_e32 v2, 0xff, v8
	s_mov_b32 s1, exec_lo
	v_cndmask_b32_e64 v1, 0, 2, vcc_lo
	v_add_lshl_u32 v6, v1, v3, 2
	ds_bpermute_b32 v1, v6, v2
	s_waitcnt lgkmcnt(2)
	ds_bpermute_b32 v7, v6, v5
	s_waitcnt lgkmcnt(2)
	;; [unrolled: 2-line block ×3, first 2 shown]
	v_and_b32_e32 v2, v8, v1
	v_and_b32_e32 v2, 1, v2
	v_cmpx_eq_u32_e32 1, v2
	s_xor_b32 s1, exec_lo, s1
	s_cbranch_execz .LBB36_136
; %bb.135:
	s_waitcnt lgkmcnt(1)
	v_cmp_gt_f32_e32 vcc_lo, v5, v7
                                        ; implicit-def: $vgpr1
                                        ; implicit-def: $vgpr8
	v_cndmask_b32_e32 v7, v5, v7, vcc_lo
	s_waitcnt lgkmcnt(0)
	v_cmp_lt_f32_e32 vcc_lo, v4, v6
                                        ; implicit-def: $vgpr5
	v_cndmask_b32_e32 v6, v4, v6, vcc_lo
                                        ; implicit-def: $vgpr4
.LBB36_136:
	s_or_saveexec_b32 s1, s1
	v_lshlrev_b32_e32 v2, 2, v3
	v_mov_b32_e32 v9, 1
	s_xor_b32 exec_lo, exec_lo, s1
	s_cbranch_execz .LBB36_140
; %bb.137:
	v_and_b32_e32 v3, 1, v8
	s_mov_b32 s3, exec_lo
	v_cmpx_eq_u32_e32 1, v3
	s_cbranch_execz .LBB36_139
; %bb.138:
	v_mov_b32_e32 v1, 1
	s_waitcnt lgkmcnt(0)
	v_mov_b32_e32 v6, v4
	v_mov_b32_e32 v7, v5
.LBB36_139:
	s_or_b32 exec_lo, exec_lo, s3
	v_mov_b32_e32 v9, v1
.LBB36_140:
	s_or_b32 exec_lo, exec_lo, s1
	v_and_b32_e32 v1, 0xff, v9
	v_or_b32_e32 v2, 16, v2
	s_mov_b32 s1, exec_lo
	ds_bpermute_b32 v3, v2, v1
	s_waitcnt lgkmcnt(2)
	ds_bpermute_b32 v1, v2, v7
	s_waitcnt lgkmcnt(2)
	;; [unrolled: 2-line block ×3, first 2 shown]
	v_and_b32_e32 v4, v9, v3
	v_and_b32_e32 v4, 1, v4
	v_cmpx_eq_u32_e32 1, v4
	s_xor_b32 s1, exec_lo, s1
	s_cbranch_execz .LBB36_142
; %bb.141:
	s_waitcnt lgkmcnt(1)
	v_cmp_gt_f32_e32 vcc_lo, v7, v1
                                        ; implicit-def: $vgpr3
                                        ; implicit-def: $vgpr9
	v_cndmask_b32_e32 v1, v7, v1, vcc_lo
	s_waitcnt lgkmcnt(0)
	v_cmp_lt_f32_e32 vcc_lo, v6, v2
                                        ; implicit-def: $vgpr7
	v_cndmask_b32_e32 v2, v6, v2, vcc_lo
                                        ; implicit-def: $vgpr6
.LBB36_142:
	s_or_saveexec_b32 s1, s1
	v_mov_b32_e32 v5, 1
	s_xor_b32 exec_lo, exec_lo, s1
	s_cbranch_execz .LBB36_146
; %bb.143:
	v_and_b32_e32 v4, 1, v9
	s_mov_b32 s3, exec_lo
	v_cmpx_eq_u32_e32 1, v4
	s_cbranch_execz .LBB36_145
; %bb.144:
	v_mov_b32_e32 v3, 1
	s_waitcnt lgkmcnt(0)
	v_mov_b32_e32 v2, v6
	v_mov_b32_e32 v1, v7
.LBB36_145:
	s_or_b32 exec_lo, exec_lo, s3
	v_mov_b32_e32 v5, v3
.LBB36_146:
	s_or_b32 exec_lo, exec_lo, s1
.LBB36_147:
	s_or_b32 exec_lo, exec_lo, s0
	s_mov_b32 s0, 0
	s_branch .LBB36_251
.LBB36_148:
	s_mov_b32 s10, 0
                                        ; implicit-def: $vgpr4
                                        ; implicit-def: $vgpr6
	s_cbranch_execnz .LBB36_821
	s_branch .LBB36_1032
.LBB36_149:
	s_mov_b32 s10, 0
                                        ; implicit-def: $vgpr4
                                        ; implicit-def: $vgpr6
	s_cbranch_execnz .LBB36_635
	s_branch .LBB36_709
.LBB36_150:
	s_mov_b32 s31, -1
.LBB36_151:
	s_mov_b32 s10, 0
                                        ; implicit-def: $vgpr4
                                        ; implicit-def: $vgpr6
	s_and_b32 vcc_lo, exec_lo, s31
	s_cbranch_vccz .LBB36_506
.LBB36_152:
	s_cmp_eq_u32 s28, 8
	s_cbranch_scc0 .LBB36_249
; %bb.153:
	s_mov_b32 s7, 0
	s_lshl_b32 s2, s6, 11
	s_mov_b32 s3, s7
	s_lshr_b64 s[0:1], s[24:25], 11
	s_lshl_b64 s[4:5], s[2:3], 2
	s_add_i32 s11, s29, s2
	s_add_u32 s8, s20, s4
	s_addc_u32 s9, s21, s5
	s_cmp_lg_u64 s[0:1], s[6:7]
	s_cbranch_scc0 .LBB36_298
; %bb.154:
	s_waitcnt lgkmcnt(1)
	v_lshlrev_b32_e32 v3, 2, v0
	s_abs_i32 s3, s23
	v_add_nc_u32_e32 v12, s11, v0
	v_add_co_u32 v4, s0, s8, v3
	v_add_co_ci_u32_e64 v5, null, s9, 0, s0
	s_sub_i32 s0, 0, s3
	v_add_co_u32 v1, vcc_lo, 0x800, v4
	s_waitcnt lgkmcnt(0)
	v_add_co_ci_u32_e64 v2, null, 0, v5, vcc_lo
	v_add_co_u32 v6, vcc_lo, v4, 0x1000
	v_add_co_ci_u32_e64 v7, null, 0, v5, vcc_lo
	v_add_co_u32 v8, vcc_lo, 0x1000, v4
	;; [unrolled: 2-line block ×3, first 2 shown]
	v_add_co_ci_u32_e64 v16, null, 0, v5, vcc_lo
	s_clause 0x7
	global_load_dword v5, v3, s[8:9]
	global_load_dword v4, v3, s[8:9] offset:1024
	global_load_dword v14, v[6:7], off offset:-2048
	global_load_dword v13, v[1:2], off offset:1024
	global_load_dword v11, v[6:7], off
	global_load_dword v9, v[8:9], off offset:1024
	global_load_dword v8, v[15:16], off
	global_load_dword v6, v[15:16], off offset:1024
	v_cvt_f32_u32_e32 v1, s3
	v_sub_nc_u32_e32 v3, 0, v12
	v_ashrrev_i32_e32 v16, 31, v12
	v_add_nc_u32_e32 v19, 0x300, v12
	v_rcp_iflag_f32_e32 v1, v1
	v_max_i32_e32 v3, v12, v3
	v_mul_f32_e32 v1, 0x4f7ffffe, v1
	v_cvt_u32_f32_e32 v1, v1
	v_mul_lo_u32 v2, s0, v1
	v_mul_hi_u32 v2, v1, v2
	v_add_nc_u32_e32 v10, v1, v2
	v_add_nc_u32_e32 v1, 0x100, v12
	v_sub_nc_u32_e32 v2, 0xffffff00, v12
	v_mul_hi_u32 v7, v3, v10
	v_max_i32_e32 v2, v1, v2
	v_ashrrev_i32_e32 v1, 31, v1
	v_mul_hi_u32 v15, v2, v10
	v_mul_lo_u32 v7, v7, s3
	v_sub_nc_u32_e32 v3, v3, v7
	v_mul_lo_u32 v7, v15, s3
	v_subrev_nc_u32_e32 v15, s3, v3
	v_cmp_le_u32_e32 vcc_lo, s3, v3
	v_sub_nc_u32_e32 v2, v2, v7
	v_cndmask_b32_e32 v3, v3, v15, vcc_lo
	v_subrev_nc_u32_e32 v7, s3, v2
	v_cmp_le_u32_e32 vcc_lo, s3, v2
	v_subrev_nc_u32_e32 v15, s3, v3
	v_cndmask_b32_e32 v2, v2, v7, vcc_lo
	v_cmp_le_u32_e32 vcc_lo, s3, v3
	v_subrev_nc_u32_e32 v7, s3, v2
	v_cndmask_b32_e32 v3, v3, v15, vcc_lo
	v_cmp_le_u32_e32 vcc_lo, s3, v2
	v_sub_nc_u32_e32 v15, 0xfffffe00, v12
	v_xor_b32_e32 v3, v3, v16
	v_cndmask_b32_e32 v2, v2, v7, vcc_lo
	v_add_nc_u32_e32 v7, 0x200, v12
	v_sub_nc_u32_e32 v3, v3, v16
	v_xor_b32_e32 v2, v2, v1
	v_max_i32_e32 v16, v7, v15
	v_sub_nc_u32_e32 v15, 0xfffffd00, v12
	v_cmp_le_i32_e64 s0, s22, v3
	v_sub_nc_u32_e32 v1, v2, v1
	v_mad_u64_u32 v[2:3], null, v16, v10, 0
	v_max_i32_e32 v18, v19, v15
	v_cmp_le_i32_e64 s1, s22, v1
	v_cmp_gt_i32_e32 vcc_lo, s22, v1
	s_or_b32 s4, s0, s1
                                        ; implicit-def: $sgpr1
	s_and_saveexec_b32 s5, s4
	s_xor_b32 s4, exec_lo, s5
	s_cbranch_execz .LBB36_158
; %bb.155:
	s_mov_b32 s1, -1
	s_and_saveexec_b32 s5, s0
	s_cbranch_execz .LBB36_157
; %bb.156:
	s_waitcnt vmcnt(6)
	v_mov_b32_e32 v5, v4
	s_orn2_b32 s1, vcc_lo, exec_lo
.LBB36_157:
	s_or_b32 exec_lo, exec_lo, s5
                                        ; implicit-def: $vgpr4
.LBB36_158:
	s_or_saveexec_b32 s0, s4
	v_mad_u64_u32 v[1:2], null, v18, v10, 0
	v_add_nc_u32_e32 v15, 0x400, v12
	v_sub_nc_u32_e32 v1, 0xfffffc00, v12
	v_ashrrev_i32_e32 v17, 31, v7
	s_waitcnt vmcnt(7)
	v_mov_b32_e32 v7, v5
	s_xor_b32 exec_lo, exec_lo, s0
	s_cbranch_execz .LBB36_160
; %bb.159:
	s_waitcnt vmcnt(6)
	v_cmp_lt_f32_e32 vcc_lo, v4, v5
	s_or_b32 s1, s1, exec_lo
	v_cndmask_b32_e32 v20, v5, v4, vcc_lo
	v_cmp_lt_f32_e32 vcc_lo, v5, v4
	v_cndmask_b32_e32 v7, v5, v4, vcc_lo
	v_mov_b32_e32 v5, v20
.LBB36_160:
	s_or_b32 exec_lo, exec_lo, s0
	v_mul_lo_u32 v3, v3, s3
	s_mov_b32 s0, -1
	v_sub_nc_u32_e32 v3, v16, v3
	s_waitcnt vmcnt(6)
	v_subrev_nc_u32_e32 v4, s3, v3
	v_cmp_le_u32_e32 vcc_lo, s3, v3
	v_cndmask_b32_e32 v3, v3, v4, vcc_lo
	v_subrev_nc_u32_e32 v4, s3, v3
	v_cmp_le_u32_e32 vcc_lo, s3, v3
	v_cndmask_b32_e32 v3, v3, v4, vcc_lo
	v_xor_b32_e32 v3, v3, v17
	v_sub_nc_u32_e32 v3, v3, v17
	v_max_i32_e32 v17, v15, v1
	v_cmp_gt_i32_e32 vcc_lo, s22, v3
	s_and_b32 s4, s1, vcc_lo
	s_xor_b32 s4, s4, -1
	s_and_saveexec_b32 s5, s4
	s_xor_b32 s4, exec_lo, s5
	s_cbranch_execz .LBB36_164
; %bb.161:
	s_xor_b32 s5, s1, -1
	s_and_saveexec_b32 s1, s5
	s_cbranch_execz .LBB36_163
; %bb.162:
	s_waitcnt vmcnt(5)
	v_mov_b32_e32 v7, v14
	v_mov_b32_e32 v5, v14
	s_orn2_b32 s0, vcc_lo, exec_lo
.LBB36_163:
	s_or_b32 exec_lo, exec_lo, s1
                                        ; implicit-def: $vgpr14
.LBB36_164:
	s_or_saveexec_b32 s1, s4
	v_mad_u64_u32 v[3:4], null, v17, v10, 0
	v_add_nc_u32_e32 v16, 0x500, v12
	v_sub_nc_u32_e32 v1, 0xfffffb00, v12
	v_ashrrev_i32_e32 v3, 31, v19
	s_xor_b32 exec_lo, exec_lo, s1
	s_cbranch_execz .LBB36_166
; %bb.165:
	s_waitcnt vmcnt(5)
	v_cmp_lt_f32_e32 vcc_lo, v14, v5
	s_or_b32 s0, s0, exec_lo
	v_cndmask_b32_e32 v5, v5, v14, vcc_lo
	v_cmp_lt_f32_e32 vcc_lo, v7, v14
	v_cndmask_b32_e32 v7, v7, v14, vcc_lo
.LBB36_166:
	s_or_b32 exec_lo, exec_lo, s1
	v_mul_lo_u32 v2, v2, s3
	s_mov_b32 s1, -1
	v_sub_nc_u32_e32 v2, v18, v2
	v_max_i32_e32 v18, v16, v1
	s_waitcnt vmcnt(5)
	v_subrev_nc_u32_e32 v14, s3, v2
	v_cmp_le_u32_e32 vcc_lo, s3, v2
	v_cndmask_b32_e32 v2, v2, v14, vcc_lo
	v_subrev_nc_u32_e32 v14, s3, v2
	v_cmp_le_u32_e32 vcc_lo, s3, v2
	v_cndmask_b32_e32 v2, v2, v14, vcc_lo
	v_xor_b32_e32 v2, v2, v3
	v_sub_nc_u32_e32 v2, v2, v3
	v_cmp_gt_i32_e32 vcc_lo, s22, v2
	s_and_b32 s4, s0, vcc_lo
	s_xor_b32 s4, s4, -1
	s_and_saveexec_b32 s5, s4
	s_xor_b32 s4, exec_lo, s5
	s_cbranch_execz .LBB36_170
; %bb.167:
	s_xor_b32 s5, s0, -1
	s_and_saveexec_b32 s0, s5
	s_cbranch_execz .LBB36_169
; %bb.168:
	s_waitcnt vmcnt(4)
	v_mov_b32_e32 v7, v13
	v_mov_b32_e32 v5, v13
	s_orn2_b32 s1, vcc_lo, exec_lo
.LBB36_169:
	s_or_b32 exec_lo, exec_lo, s0
                                        ; implicit-def: $vgpr13
.LBB36_170:
	s_or_saveexec_b32 s0, s4
	v_mad_u64_u32 v[1:2], null, v18, v10, 0
	v_add_nc_u32_e32 v14, 0x600, v12
	v_sub_nc_u32_e32 v1, 0xfffffa00, v12
	v_ashrrev_i32_e32 v3, 31, v15
	s_xor_b32 exec_lo, exec_lo, s0
	s_cbranch_execz .LBB36_172
; %bb.171:
	s_waitcnt vmcnt(4)
	v_cmp_lt_f32_e32 vcc_lo, v13, v5
	s_or_b32 s1, s1, exec_lo
	v_cndmask_b32_e32 v5, v5, v13, vcc_lo
	v_cmp_lt_f32_e32 vcc_lo, v7, v13
	v_cndmask_b32_e32 v7, v7, v13, vcc_lo
.LBB36_172:
	s_or_b32 exec_lo, exec_lo, s0
	v_mul_lo_u32 v4, v4, s3
	s_mov_b32 s0, -1
	v_sub_nc_u32_e32 v4, v17, v4
	s_waitcnt vmcnt(4)
	v_subrev_nc_u32_e32 v13, s3, v4
	v_cmp_le_u32_e32 vcc_lo, s3, v4
	v_cndmask_b32_e32 v4, v4, v13, vcc_lo
	v_subrev_nc_u32_e32 v13, s3, v4
	v_cmp_le_u32_e32 vcc_lo, s3, v4
	v_cndmask_b32_e32 v4, v4, v13, vcc_lo
	v_max_i32_e32 v13, v14, v1
	v_xor_b32_e32 v4, v4, v3
	v_sub_nc_u32_e32 v3, v4, v3
	v_cmp_gt_i32_e32 vcc_lo, s22, v3
	s_and_b32 s4, s1, vcc_lo
	s_xor_b32 s4, s4, -1
	s_and_saveexec_b32 s5, s4
	s_xor_b32 s4, exec_lo, s5
	s_cbranch_execz .LBB36_176
; %bb.173:
	s_xor_b32 s5, s1, -1
	s_and_saveexec_b32 s1, s5
	s_cbranch_execz .LBB36_175
; %bb.174:
	s_waitcnt vmcnt(3)
	v_mov_b32_e32 v7, v11
	v_mov_b32_e32 v5, v11
	s_orn2_b32 s0, vcc_lo, exec_lo
.LBB36_175:
	s_or_b32 exec_lo, exec_lo, s1
                                        ; implicit-def: $vgpr11
.LBB36_176:
	s_or_saveexec_b32 s1, s4
	v_mad_u64_u32 v[3:4], null, v13, v10, 0
	v_add_nc_u32_e32 v3, 0x700, v12
	v_sub_nc_u32_e32 v1, 0xfffff900, v12
	v_ashrrev_i32_e32 v12, 31, v16
	s_xor_b32 exec_lo, exec_lo, s1
	s_cbranch_execz .LBB36_178
; %bb.177:
	s_waitcnt vmcnt(3)
	v_cmp_lt_f32_e32 vcc_lo, v11, v5
	s_or_b32 s0, s0, exec_lo
	v_cndmask_b32_e32 v5, v5, v11, vcc_lo
	v_cmp_lt_f32_e32 vcc_lo, v7, v11
	v_cndmask_b32_e32 v7, v7, v11, vcc_lo
.LBB36_178:
	s_or_b32 exec_lo, exec_lo, s1
	v_mul_lo_u32 v2, v2, s3
	s_mov_b32 s1, -1
	v_sub_nc_u32_e32 v2, v18, v2
	s_waitcnt vmcnt(3)
	v_subrev_nc_u32_e32 v11, s3, v2
	v_cmp_le_u32_e32 vcc_lo, s3, v2
	v_cndmask_b32_e32 v2, v2, v11, vcc_lo
	v_subrev_nc_u32_e32 v11, s3, v2
	v_cmp_le_u32_e32 vcc_lo, s3, v2
	v_cndmask_b32_e32 v2, v2, v11, vcc_lo
	v_max_i32_e32 v11, v3, v1
	v_xor_b32_e32 v2, v2, v12
	v_sub_nc_u32_e32 v2, v2, v12
	v_cmp_gt_i32_e32 vcc_lo, s22, v2
	s_and_b32 s4, s0, vcc_lo
	s_xor_b32 s4, s4, -1
	s_and_saveexec_b32 s5, s4
	s_xor_b32 s4, exec_lo, s5
	s_cbranch_execz .LBB36_182
; %bb.179:
	s_xor_b32 s5, s0, -1
	s_and_saveexec_b32 s0, s5
	s_cbranch_execz .LBB36_181
; %bb.180:
	s_waitcnt vmcnt(2)
	v_mov_b32_e32 v7, v9
	v_mov_b32_e32 v5, v9
	s_orn2_b32 s1, vcc_lo, exec_lo
.LBB36_181:
	s_or_b32 exec_lo, exec_lo, s0
                                        ; implicit-def: $vgpr9
.LBB36_182:
	s_or_saveexec_b32 s0, s4
	v_mad_u64_u32 v[1:2], null, v11, v10, 0
	v_ashrrev_i32_e32 v1, 31, v14
	s_xor_b32 exec_lo, exec_lo, s0
	s_cbranch_execz .LBB36_184
; %bb.183:
	s_waitcnt vmcnt(2)
	v_cmp_lt_f32_e32 vcc_lo, v9, v5
	s_or_b32 s1, s1, exec_lo
	v_cndmask_b32_e32 v5, v5, v9, vcc_lo
	v_cmp_lt_f32_e32 vcc_lo, v7, v9
	v_cndmask_b32_e32 v7, v7, v9, vcc_lo
.LBB36_184:
	s_or_b32 exec_lo, exec_lo, s0
	v_mul_lo_u32 v4, v4, s3
	s_mov_b32 s0, -1
	v_sub_nc_u32_e32 v4, v13, v4
	s_waitcnt vmcnt(2)
	v_subrev_nc_u32_e32 v9, s3, v4
	v_cmp_le_u32_e32 vcc_lo, s3, v4
	v_cndmask_b32_e32 v4, v4, v9, vcc_lo
	v_subrev_nc_u32_e32 v9, s3, v4
	v_cmp_le_u32_e32 vcc_lo, s3, v4
	v_cndmask_b32_e32 v4, v4, v9, vcc_lo
	v_xor_b32_e32 v4, v4, v1
	v_sub_nc_u32_e32 v1, v4, v1
	v_cmp_gt_i32_e32 vcc_lo, s22, v1
	s_and_b32 s4, s1, vcc_lo
	s_xor_b32 s4, s4, -1
	s_and_saveexec_b32 s5, s4
	s_xor_b32 s4, exec_lo, s5
	s_cbranch_execz .LBB36_188
; %bb.185:
	s_xor_b32 s5, s1, -1
	s_and_saveexec_b32 s1, s5
	s_cbranch_execz .LBB36_187
; %bb.186:
	s_waitcnt vmcnt(1)
	v_mov_b32_e32 v7, v8
	v_mov_b32_e32 v5, v8
	s_orn2_b32 s0, vcc_lo, exec_lo
.LBB36_187:
	s_or_b32 exec_lo, exec_lo, s1
                                        ; implicit-def: $vgpr8
.LBB36_188:
	s_or_saveexec_b32 s1, s4
	v_ashrrev_i32_e32 v1, 31, v3
	s_xor_b32 exec_lo, exec_lo, s1
	s_cbranch_execz .LBB36_190
; %bb.189:
	s_waitcnt vmcnt(1)
	v_cmp_lt_f32_e32 vcc_lo, v8, v5
	s_or_b32 s0, s0, exec_lo
	v_cndmask_b32_e32 v5, v5, v8, vcc_lo
	v_cmp_lt_f32_e32 vcc_lo, v7, v8
	v_cndmask_b32_e32 v7, v7, v8, vcc_lo
.LBB36_190:
	s_or_b32 exec_lo, exec_lo, s1
	v_mul_lo_u32 v2, v2, s3
	v_sub_nc_u32_e32 v2, v11, v2
	v_subrev_nc_u32_e32 v3, s3, v2
	v_cmp_le_u32_e32 vcc_lo, s3, v2
	v_cndmask_b32_e32 v2, v2, v3, vcc_lo
	v_subrev_nc_u32_e32 v3, s3, v2
	v_cmp_le_u32_e32 vcc_lo, s3, v2
	v_cndmask_b32_e32 v2, v2, v3, vcc_lo
	v_xor_b32_e32 v2, v2, v1
	v_sub_nc_u32_e32 v1, v2, v1
	v_cmp_gt_i32_e32 vcc_lo, s22, v1
                                        ; implicit-def: $vgpr1
	s_and_b32 s1, s0, vcc_lo
	s_xor_b32 s1, s1, -1
	s_and_saveexec_b32 s3, s1
	s_xor_b32 s1, exec_lo, s3
	s_cbranch_execz .LBB36_194
; %bb.191:
	v_mov_b32_e32 v1, 1
	s_xor_b32 s3, s0, -1
	s_and_saveexec_b32 s0, s3
	s_cbranch_execz .LBB36_193
; %bb.192:
	v_cndmask_b32_e64 v1, 0, 1, vcc_lo
	s_waitcnt vmcnt(0)
	v_mov_b32_e32 v7, v6
	v_mov_b32_e32 v5, v6
.LBB36_193:
	s_or_b32 exec_lo, exec_lo, s0
                                        ; implicit-def: $vgpr6
.LBB36_194:
	s_andn2_saveexec_b32 s0, s1
	s_cbranch_execz .LBB36_196
; %bb.195:
	s_waitcnt vmcnt(0)
	v_cmp_lt_f32_e32 vcc_lo, v6, v5
	v_mov_b32_e32 v1, 1
	v_cndmask_b32_e32 v5, v5, v6, vcc_lo
	v_cmp_lt_f32_e32 vcc_lo, v7, v6
	v_cndmask_b32_e32 v7, v7, v6, vcc_lo
.LBB36_196:
	s_or_b32 exec_lo, exec_lo, s0
	v_and_b32_e32 v3, 0xff, v1
	v_and_b32_e32 v1, 1, v1
                                        ; implicit-def: $vgpr6
	v_mov_b32_dpp v2, v3 quad_perm:[1,0,3,2] row_mask:0xf bank_mask:0xf
	v_cmp_eq_u32_e64 s0, 1, v1
	v_mov_b32_dpp v1, v5 quad_perm:[1,0,3,2] row_mask:0xf bank_mask:0xf
	v_and_b32_e32 v2, 1, v2
	v_cmp_eq_u32_e32 vcc_lo, 1, v2
	v_mov_b32_dpp v2, v7 quad_perm:[1,0,3,2] row_mask:0xf bank_mask:0xf
	s_and_b32 s0, vcc_lo, s0
	s_xor_b32 s0, s0, -1
	s_and_saveexec_b32 s1, s0
	s_xor_b32 s0, exec_lo, s1
	s_cbranch_execz .LBB36_200
; %bb.197:
	s_waitcnt vmcnt(0)
	v_mov_b32_e32 v6, 1
	s_xor_b32 s3, vcc_lo, -1
	s_and_saveexec_b32 s1, s3
; %bb.198:
	v_mov_b32_e32 v2, v7
	v_mov_b32_e32 v1, v5
	;; [unrolled: 1-line block ×3, first 2 shown]
; %bb.199:
	s_or_b32 exec_lo, exec_lo, s1
                                        ; implicit-def: $vgpr5
                                        ; implicit-def: $vgpr7
.LBB36_200:
	s_andn2_saveexec_b32 s0, s0
	s_cbranch_execz .LBB36_202
; %bb.201:
	v_cmp_lt_f32_e32 vcc_lo, v5, v1
	s_waitcnt vmcnt(0)
	v_mov_b32_e32 v6, 1
	v_cndmask_b32_e32 v1, v1, v5, vcc_lo
	v_cmp_gt_f32_e32 vcc_lo, v7, v2
	v_cndmask_b32_e32 v2, v2, v7, vcc_lo
.LBB36_202:
	s_or_b32 exec_lo, exec_lo, s0
	s_waitcnt vmcnt(0)
	v_mov_b32_dpp v3, v6 quad_perm:[2,3,0,1] row_mask:0xf bank_mask:0xf
	v_and_b32_e32 v4, v3, v6
	v_and_b32_e32 v5, 1, v3
	v_mov_b32_dpp v3, v1 quad_perm:[2,3,0,1] row_mask:0xf bank_mask:0xf
	v_and_b32_e32 v7, 1, v4
	v_mov_b32_dpp v4, v2 quad_perm:[2,3,0,1] row_mask:0xf bank_mask:0xf
	v_cmp_ne_u32_e32 vcc_lo, 1, v5
                                        ; implicit-def: $vgpr5
	v_cmp_ne_u32_e64 s0, 1, v7
	s_and_saveexec_b32 s1, s0
	s_xor_b32 s0, exec_lo, s1
	s_cbranch_execz .LBB36_206
; %bb.203:
	v_mov_b32_e32 v5, 1
	s_and_saveexec_b32 s1, vcc_lo
; %bb.204:
	v_mov_b32_e32 v4, v2
	v_mov_b32_e32 v3, v1
	;; [unrolled: 1-line block ×3, first 2 shown]
; %bb.205:
	s_or_b32 exec_lo, exec_lo, s1
                                        ; implicit-def: $vgpr1
                                        ; implicit-def: $vgpr2
.LBB36_206:
	s_andn2_saveexec_b32 s0, s0
; %bb.207:
	v_cmp_lt_f32_e32 vcc_lo, v1, v3
	v_mov_b32_e32 v5, 1
	v_cndmask_b32_e32 v3, v3, v1, vcc_lo
	v_cmp_gt_f32_e32 vcc_lo, v2, v4
	v_cndmask_b32_e32 v4, v4, v2, vcc_lo
; %bb.208:
	s_or_b32 exec_lo, exec_lo, s0
	v_mov_b32_dpp v1, v5 row_ror:4 row_mask:0xf bank_mask:0xf
	v_and_b32_e32 v2, v1, v5
	v_and_b32_e32 v6, 1, v1
	v_mov_b32_dpp v1, v3 row_ror:4 row_mask:0xf bank_mask:0xf
	v_and_b32_e32 v7, 1, v2
	v_mov_b32_dpp v2, v4 row_ror:4 row_mask:0xf bank_mask:0xf
	v_cmp_ne_u32_e32 vcc_lo, 1, v6
                                        ; implicit-def: $vgpr6
	v_cmp_ne_u32_e64 s0, 1, v7
	s_and_saveexec_b32 s1, s0
	s_xor_b32 s0, exec_lo, s1
	s_cbranch_execz .LBB36_212
; %bb.209:
	v_mov_b32_e32 v6, 1
	s_and_saveexec_b32 s1, vcc_lo
; %bb.210:
	v_mov_b32_e32 v2, v4
	v_mov_b32_e32 v1, v3
	;; [unrolled: 1-line block ×3, first 2 shown]
; %bb.211:
	s_or_b32 exec_lo, exec_lo, s1
                                        ; implicit-def: $vgpr3
                                        ; implicit-def: $vgpr4
.LBB36_212:
	s_andn2_saveexec_b32 s0, s0
; %bb.213:
	v_cmp_lt_f32_e32 vcc_lo, v3, v1
	v_mov_b32_e32 v6, 1
	v_cndmask_b32_e32 v1, v1, v3, vcc_lo
	v_cmp_gt_f32_e32 vcc_lo, v4, v2
	v_cndmask_b32_e32 v2, v2, v4, vcc_lo
; %bb.214:
	s_or_b32 exec_lo, exec_lo, s0
	v_mov_b32_dpp v3, v6 row_ror:8 row_mask:0xf bank_mask:0xf
	v_and_b32_e32 v4, v3, v6
	v_and_b32_e32 v5, 1, v3
	v_mov_b32_dpp v3, v1 row_ror:8 row_mask:0xf bank_mask:0xf
	v_and_b32_e32 v7, 1, v4
	v_mov_b32_dpp v4, v2 row_ror:8 row_mask:0xf bank_mask:0xf
	v_cmp_ne_u32_e32 vcc_lo, 1, v5
                                        ; implicit-def: $vgpr5
	v_cmp_ne_u32_e64 s0, 1, v7
	s_and_saveexec_b32 s1, s0
	s_xor_b32 s0, exec_lo, s1
	s_cbranch_execz .LBB36_218
; %bb.215:
	v_mov_b32_e32 v5, 1
	s_and_saveexec_b32 s1, vcc_lo
; %bb.216:
	v_mov_b32_e32 v4, v2
	v_mov_b32_e32 v3, v1
	;; [unrolled: 1-line block ×3, first 2 shown]
; %bb.217:
	s_or_b32 exec_lo, exec_lo, s1
                                        ; implicit-def: $vgpr1
                                        ; implicit-def: $vgpr2
.LBB36_218:
	s_andn2_saveexec_b32 s0, s0
; %bb.219:
	v_cmp_lt_f32_e32 vcc_lo, v1, v3
	v_mov_b32_e32 v5, 1
	v_cndmask_b32_e32 v3, v3, v1, vcc_lo
	v_cmp_gt_f32_e32 vcc_lo, v2, v4
	v_cndmask_b32_e32 v4, v4, v2, vcc_lo
; %bb.220:
	s_or_b32 exec_lo, exec_lo, s0
	ds_swizzle_b32 v6, v5 offset:swizzle(BROADCAST,32,15)
	ds_swizzle_b32 v1, v3 offset:swizzle(BROADCAST,32,15)
	;; [unrolled: 1-line block ×3, first 2 shown]
	s_waitcnt lgkmcnt(2)
	v_and_b32_e32 v7, v6, v5
	v_and_b32_e32 v6, 1, v6
	;; [unrolled: 1-line block ×3, first 2 shown]
	v_cmp_ne_u32_e32 vcc_lo, 1, v6
                                        ; implicit-def: $vgpr6
	v_cmp_ne_u32_e64 s0, 1, v7
	s_and_saveexec_b32 s1, s0
	s_xor_b32 s0, exec_lo, s1
	s_cbranch_execz .LBB36_224
; %bb.221:
	v_mov_b32_e32 v6, 1
	s_and_saveexec_b32 s1, vcc_lo
	s_cbranch_execz .LBB36_223
; %bb.222:
	s_waitcnt lgkmcnt(0)
	v_mov_b32_e32 v2, v4
	v_mov_b32_e32 v1, v3
	;; [unrolled: 1-line block ×3, first 2 shown]
.LBB36_223:
	s_or_b32 exec_lo, exec_lo, s1
                                        ; implicit-def: $vgpr3
                                        ; implicit-def: $vgpr4
.LBB36_224:
	s_andn2_saveexec_b32 s0, s0
	s_cbranch_execz .LBB36_226
; %bb.225:
	s_waitcnt lgkmcnt(1)
	v_cmp_lt_f32_e32 vcc_lo, v3, v1
	v_mov_b32_e32 v6, 1
	v_cndmask_b32_e32 v1, v1, v3, vcc_lo
	s_waitcnt lgkmcnt(0)
	v_cmp_gt_f32_e32 vcc_lo, v4, v2
	v_cndmask_b32_e32 v2, v2, v4, vcc_lo
.LBB36_226:
	s_or_b32 exec_lo, exec_lo, s0
	v_mov_b32_e32 v3, 0
	s_mov_b32 s0, exec_lo
	ds_bpermute_b32 v5, v3, v6 offset:124
	s_waitcnt lgkmcnt(2)
	ds_bpermute_b32 v1, v3, v1 offset:124
	s_waitcnt lgkmcnt(2)
	ds_bpermute_b32 v2, v3, v2 offset:124
	v_mbcnt_lo_u32_b32 v3, -1, 0
	v_cmpx_eq_u32_e32 0, v3
	s_cbranch_execz .LBB36_228
; %bb.227:
	v_lshrrev_b32_e32 v4, 5, v0
	v_mul_u32_u24_e32 v4, 12, v4
	s_waitcnt lgkmcnt(2)
	ds_write_b8 v4, v5 offset:480
	s_waitcnt lgkmcnt(1)
	ds_write2_b32 v4, v1, v2 offset0:121 offset1:122
.LBB36_228:
	s_or_b32 exec_lo, exec_lo, s0
	s_mov_b32 s0, exec_lo
	s_waitcnt lgkmcnt(0)
	s_barrier
	buffer_gl0_inv
	v_cmpx_gt_u32_e32 32, v0
	s_cbranch_execz .LBB36_248
; %bb.229:
	v_and_b32_e32 v6, 7, v3
	s_mov_b32 s1, exec_lo
	v_mul_u32_u24_e32 v1, 12, v6
	v_cmp_ne_u32_e32 vcc_lo, 7, v6
	ds_read_u8 v9, v1 offset:480
	v_add_co_ci_u32_e64 v4, null, 0, v3, vcc_lo
	ds_read2_b32 v[1:2], v1 offset0:121 offset1:122
	v_lshlrev_b32_e32 v4, 2, v4
	s_waitcnt lgkmcnt(1)
	v_and_b32_e32 v5, 0xff, v9
	ds_bpermute_b32 v7, v4, v5
	s_waitcnt lgkmcnt(1)
	ds_bpermute_b32 v5, v4, v1
	ds_bpermute_b32 v4, v4, v2
	s_waitcnt lgkmcnt(2)
	v_and_b32_e32 v8, v9, v7
	v_and_b32_e32 v8, 1, v8
	v_cmpx_eq_u32_e32 1, v8
	s_xor_b32 s1, exec_lo, s1
	s_cbranch_execz .LBB36_231
; %bb.230:
	s_waitcnt lgkmcnt(1)
	v_cmp_gt_f32_e32 vcc_lo, v1, v5
                                        ; implicit-def: $vgpr7
                                        ; implicit-def: $vgpr9
	v_cndmask_b32_e32 v5, v1, v5, vcc_lo
	s_waitcnt lgkmcnt(0)
	v_cmp_lt_f32_e32 vcc_lo, v2, v4
	v_cndmask_b32_e32 v4, v2, v4, vcc_lo
                                        ; implicit-def: $vgpr2
.LBB36_231:
	s_or_saveexec_b32 s1, s1
	v_mov_b32_e32 v8, 1
	s_xor_b32 exec_lo, exec_lo, s1
	s_cbranch_execz .LBB36_235
; %bb.232:
	v_and_b32_e32 v8, 1, v9
	s_mov_b32 s3, exec_lo
	v_cmpx_eq_u32_e32 1, v8
	s_cbranch_execz .LBB36_234
; %bb.233:
	v_mov_b32_e32 v7, 1
	s_waitcnt lgkmcnt(0)
	v_mov_b32_e32 v4, v2
	v_mov_b32_e32 v5, v1
.LBB36_234:
	s_or_b32 exec_lo, exec_lo, s3
	v_mov_b32_e32 v8, v7
.LBB36_235:
	s_or_b32 exec_lo, exec_lo, s1
	v_cmp_gt_u32_e32 vcc_lo, 6, v6
	v_and_b32_e32 v2, 0xff, v8
	s_mov_b32 s1, exec_lo
	v_cndmask_b32_e64 v1, 0, 2, vcc_lo
	v_add_lshl_u32 v6, v1, v3, 2
	ds_bpermute_b32 v1, v6, v2
	s_waitcnt lgkmcnt(2)
	ds_bpermute_b32 v7, v6, v5
	s_waitcnt lgkmcnt(2)
	ds_bpermute_b32 v6, v6, v4
	s_waitcnt lgkmcnt(2)
	v_and_b32_e32 v2, v8, v1
	v_and_b32_e32 v2, 1, v2
	v_cmpx_eq_u32_e32 1, v2
	s_xor_b32 s1, exec_lo, s1
	s_cbranch_execz .LBB36_237
; %bb.236:
	s_waitcnt lgkmcnt(1)
	v_cmp_gt_f32_e32 vcc_lo, v5, v7
                                        ; implicit-def: $vgpr1
                                        ; implicit-def: $vgpr8
	v_cndmask_b32_e32 v7, v5, v7, vcc_lo
	s_waitcnt lgkmcnt(0)
	v_cmp_lt_f32_e32 vcc_lo, v4, v6
                                        ; implicit-def: $vgpr5
	v_cndmask_b32_e32 v6, v4, v6, vcc_lo
                                        ; implicit-def: $vgpr4
.LBB36_237:
	s_or_saveexec_b32 s1, s1
	v_lshlrev_b32_e32 v2, 2, v3
	v_mov_b32_e32 v9, 1
	s_xor_b32 exec_lo, exec_lo, s1
	s_cbranch_execz .LBB36_241
; %bb.238:
	v_and_b32_e32 v3, 1, v8
	s_mov_b32 s3, exec_lo
	v_cmpx_eq_u32_e32 1, v3
	s_cbranch_execz .LBB36_240
; %bb.239:
	v_mov_b32_e32 v1, 1
	s_waitcnt lgkmcnt(0)
	v_mov_b32_e32 v6, v4
	v_mov_b32_e32 v7, v5
.LBB36_240:
	s_or_b32 exec_lo, exec_lo, s3
	v_mov_b32_e32 v9, v1
.LBB36_241:
	s_or_b32 exec_lo, exec_lo, s1
	v_and_b32_e32 v1, 0xff, v9
	v_or_b32_e32 v2, 16, v2
	s_mov_b32 s1, exec_lo
	ds_bpermute_b32 v3, v2, v1
	s_waitcnt lgkmcnt(2)
	ds_bpermute_b32 v1, v2, v7
	s_waitcnt lgkmcnt(2)
	;; [unrolled: 2-line block ×3, first 2 shown]
	v_and_b32_e32 v4, v9, v3
	v_and_b32_e32 v4, 1, v4
	v_cmpx_eq_u32_e32 1, v4
	s_xor_b32 s1, exec_lo, s1
	s_cbranch_execz .LBB36_243
; %bb.242:
	s_waitcnt lgkmcnt(1)
	v_cmp_gt_f32_e32 vcc_lo, v7, v1
                                        ; implicit-def: $vgpr3
                                        ; implicit-def: $vgpr9
	v_cndmask_b32_e32 v1, v7, v1, vcc_lo
	s_waitcnt lgkmcnt(0)
	v_cmp_lt_f32_e32 vcc_lo, v6, v2
                                        ; implicit-def: $vgpr7
	v_cndmask_b32_e32 v2, v6, v2, vcc_lo
                                        ; implicit-def: $vgpr6
.LBB36_243:
	s_or_saveexec_b32 s1, s1
	v_mov_b32_e32 v5, 1
	s_xor_b32 exec_lo, exec_lo, s1
	s_cbranch_execz .LBB36_247
; %bb.244:
	v_and_b32_e32 v4, 1, v9
	s_mov_b32 s3, exec_lo
	v_cmpx_eq_u32_e32 1, v4
	s_cbranch_execz .LBB36_246
; %bb.245:
	v_mov_b32_e32 v3, 1
	s_waitcnt lgkmcnt(0)
	v_mov_b32_e32 v2, v6
	v_mov_b32_e32 v1, v7
.LBB36_246:
	s_or_b32 exec_lo, exec_lo, s3
	v_mov_b32_e32 v5, v3
.LBB36_247:
	s_or_b32 exec_lo, exec_lo, s1
.LBB36_248:
	s_or_b32 exec_lo, exec_lo, s0
	s_mov_b32 s0, 0
	s_branch .LBB36_299
.LBB36_249:
                                        ; implicit-def: $vgpr4
                                        ; implicit-def: $vgpr6
	s_branch .LBB36_709
.LBB36_250:
	s_mov_b32 s0, -1
                                        ; implicit-def: $vgpr2
                                        ; implicit-def: $vgpr5
.LBB36_251:
	s_and_b32 vcc_lo, exec_lo, s0
	s_cbranch_vccz .LBB36_497
; %bb.252:
	v_mov_b32_e32 v5, 0
	v_mov_b32_e32 v29, 0
	s_waitcnt lgkmcnt(1)
	v_mov_b32_e32 v1, 0
	s_sub_i32 s34, s24, s2
	s_mov_b32 s0, exec_lo
	v_cmpx_gt_u32_e64 s34, v0
	s_cbranch_execz .LBB36_254
; %bb.253:
	v_lshlrev_b32_e32 v1, 2, v0
	s_abs_i32 s1, s23
	v_add_nc_u32_e32 v4, s33, v0
	s_waitcnt lgkmcnt(0)
	v_cvt_f32_u32_e32 v2, s1
	s_sub_i32 s2, 0, s1
	global_load_dword v1, v1, s[16:17]
	v_sub_nc_u32_e32 v5, 0, v4
	v_rcp_iflag_f32_e32 v2, v2
	v_max_i32_e32 v5, v4, v5
	v_ashrrev_i32_e32 v4, 31, v4
	v_mul_f32_e32 v2, 0x4f7ffffe, v2
	v_cvt_u32_f32_e32 v2, v2
	v_mul_lo_u32 v3, s2, v2
	v_mul_hi_u32 v3, v2, v3
	v_add_nc_u32_e32 v2, v2, v3
	v_mul_hi_u32 v2, v5, v2
	v_mul_lo_u32 v2, v2, s1
	v_sub_nc_u32_e32 v2, v5, v2
	v_subrev_nc_u32_e32 v3, s1, v2
	v_cmp_le_u32_e32 vcc_lo, s1, v2
	v_cndmask_b32_e32 v2, v2, v3, vcc_lo
	v_subrev_nc_u32_e32 v3, s1, v2
	v_cmp_le_u32_e32 vcc_lo, s1, v2
	v_cndmask_b32_e32 v2, v2, v3, vcc_lo
	v_xor_b32_e32 v2, v2, v4
	v_sub_nc_u32_e32 v2, v2, v4
	v_cmp_gt_i32_e32 vcc_lo, s22, v2
	v_cndmask_b32_e64 v5, 0, 1, vcc_lo
.LBB36_254:
	s_or_b32 exec_lo, exec_lo, s0
	s_waitcnt lgkmcnt(0)
	v_or_b32_e32 v2, 0x100, v0
	v_mov_b32_e32 v33, 0
	v_cmp_gt_u32_e64 s15, s34, v2
	s_and_saveexec_b32 s0, s15
	s_cbranch_execz .LBB36_256
; %bb.255:
	v_lshlrev_b32_e32 v3, 2, v0
	s_abs_i32 s1, s23
	v_add_nc_u32_e32 v2, s33, v2
	s_sub_i32 s2, 0, s1
	global_load_dword v29, v3, s[16:17] offset:1024
	v_cvt_f32_u32_e32 v3, s1
	v_sub_nc_u32_e32 v6, 0, v2
	v_rcp_iflag_f32_e32 v3, v3
	v_max_i32_e32 v6, v2, v6
	v_ashrrev_i32_e32 v2, 31, v2
	v_mul_f32_e32 v3, 0x4f7ffffe, v3
	v_cvt_u32_f32_e32 v3, v3
	v_mul_lo_u32 v4, s2, v3
	v_mul_hi_u32 v4, v3, v4
	v_add_nc_u32_e32 v3, v3, v4
	v_mul_hi_u32 v3, v6, v3
	v_mul_lo_u32 v3, v3, s1
	v_sub_nc_u32_e32 v3, v6, v3
	v_subrev_nc_u32_e32 v4, s1, v3
	v_cmp_le_u32_e32 vcc_lo, s1, v3
	v_cndmask_b32_e32 v3, v3, v4, vcc_lo
	v_subrev_nc_u32_e32 v4, s1, v3
	v_cmp_le_u32_e32 vcc_lo, s1, v3
	v_cndmask_b32_e32 v3, v3, v4, vcc_lo
	v_xor_b32_e32 v3, v3, v2
	v_sub_nc_u32_e32 v2, v3, v2
	v_cmp_gt_i32_e32 vcc_lo, s22, v2
	v_cndmask_b32_e64 v33, 0, 1, vcc_lo
.LBB36_256:
	s_or_b32 exec_lo, exec_lo, s0
	v_or_b32_e32 v2, 0x200, v0
	v_mov_b32_e32 v32, 0
	v_mov_b32_e32 v25, 0
	;; [unrolled: 1-line block ×3, first 2 shown]
	v_cmp_gt_u32_e64 s14, s34, v2
	s_and_saveexec_b32 s0, s14
	s_cbranch_execz .LBB36_258
; %bb.257:
	v_lshlrev_b32_e32 v3, 2, v2
	s_abs_i32 s1, s23
	v_add_nc_u32_e32 v2, s33, v2
	s_sub_i32 s2, 0, s1
	global_load_dword v30, v3, s[16:17]
	v_cvt_f32_u32_e32 v3, s1
	v_sub_nc_u32_e32 v6, 0, v2
	v_rcp_iflag_f32_e32 v3, v3
	v_max_i32_e32 v6, v2, v6
	v_ashrrev_i32_e32 v2, 31, v2
	v_mul_f32_e32 v3, 0x4f7ffffe, v3
	v_cvt_u32_f32_e32 v3, v3
	v_mul_lo_u32 v4, s2, v3
	v_mul_hi_u32 v4, v3, v4
	v_add_nc_u32_e32 v3, v3, v4
	v_mul_hi_u32 v3, v6, v3
	v_mul_lo_u32 v3, v3, s1
	v_sub_nc_u32_e32 v3, v6, v3
	v_subrev_nc_u32_e32 v4, s1, v3
	v_cmp_le_u32_e32 vcc_lo, s1, v3
	v_cndmask_b32_e32 v3, v3, v4, vcc_lo
	v_subrev_nc_u32_e32 v4, s1, v3
	v_cmp_le_u32_e32 vcc_lo, s1, v3
	v_cndmask_b32_e32 v3, v3, v4, vcc_lo
	v_xor_b32_e32 v3, v3, v2
	v_sub_nc_u32_e32 v2, v3, v2
	v_cmp_gt_i32_e32 vcc_lo, s22, v2
	v_cndmask_b32_e64 v32, 0, 1, vcc_lo
.LBB36_258:
	s_or_b32 exec_lo, exec_lo, s0
	v_or_b32_e32 v2, 0x300, v0
	v_mov_b32_e32 v31, 0
	v_cmp_gt_u32_e64 s13, s34, v2
	s_and_saveexec_b32 s0, s13
	s_cbranch_execz .LBB36_260
; %bb.259:
	v_lshlrev_b32_e32 v3, 2, v2
	s_abs_i32 s1, s23
	v_add_nc_u32_e32 v2, s33, v2
	s_sub_i32 s2, 0, s1
	global_load_dword v25, v3, s[16:17]
	v_cvt_f32_u32_e32 v3, s1
	v_sub_nc_u32_e32 v6, 0, v2
	v_rcp_iflag_f32_e32 v3, v3
	v_max_i32_e32 v6, v2, v6
	v_ashrrev_i32_e32 v2, 31, v2
	v_mul_f32_e32 v3, 0x4f7ffffe, v3
	v_cvt_u32_f32_e32 v3, v3
	v_mul_lo_u32 v4, s2, v3
	v_mul_hi_u32 v4, v3, v4
	v_add_nc_u32_e32 v3, v3, v4
	v_mul_hi_u32 v3, v6, v3
	v_mul_lo_u32 v3, v3, s1
	v_sub_nc_u32_e32 v3, v6, v3
	v_subrev_nc_u32_e32 v4, s1, v3
	v_cmp_le_u32_e32 vcc_lo, s1, v3
	v_cndmask_b32_e32 v3, v3, v4, vcc_lo
	v_subrev_nc_u32_e32 v4, s1, v3
	v_cmp_le_u32_e32 vcc_lo, s1, v3
	v_cndmask_b32_e32 v3, v3, v4, vcc_lo
	v_xor_b32_e32 v3, v3, v2
	v_sub_nc_u32_e32 v2, v3, v2
	v_cmp_gt_i32_e32 vcc_lo, s22, v2
	v_cndmask_b32_e64 v31, 0, 1, vcc_lo
.LBB36_260:
	s_or_b32 exec_lo, exec_lo, s0
	v_or_b32_e32 v2, 0x400, v0
	v_mov_b32_e32 v28, 0
	v_mov_b32_e32 v21, 0
	;; [unrolled: 1-line block ×3, first 2 shown]
	v_cmp_gt_u32_e64 s12, s34, v2
	s_and_saveexec_b32 s0, s12
	s_cbranch_execz .LBB36_262
; %bb.261:
	v_lshlrev_b32_e32 v3, 2, v2
	s_abs_i32 s1, s23
	v_add_nc_u32_e32 v2, s33, v2
	s_sub_i32 s2, 0, s1
	global_load_dword v26, v3, s[16:17]
	v_cvt_f32_u32_e32 v3, s1
	v_sub_nc_u32_e32 v6, 0, v2
	v_rcp_iflag_f32_e32 v3, v3
	v_max_i32_e32 v6, v2, v6
	v_ashrrev_i32_e32 v2, 31, v2
	v_mul_f32_e32 v3, 0x4f7ffffe, v3
	v_cvt_u32_f32_e32 v3, v3
	v_mul_lo_u32 v4, s2, v3
	v_mul_hi_u32 v4, v3, v4
	v_add_nc_u32_e32 v3, v3, v4
	v_mul_hi_u32 v3, v6, v3
	v_mul_lo_u32 v3, v3, s1
	v_sub_nc_u32_e32 v3, v6, v3
	v_subrev_nc_u32_e32 v4, s1, v3
	v_cmp_le_u32_e32 vcc_lo, s1, v3
	v_cndmask_b32_e32 v3, v3, v4, vcc_lo
	v_subrev_nc_u32_e32 v4, s1, v3
	v_cmp_le_u32_e32 vcc_lo, s1, v3
	v_cndmask_b32_e32 v3, v3, v4, vcc_lo
	v_xor_b32_e32 v3, v3, v2
	v_sub_nc_u32_e32 v2, v3, v2
	v_cmp_gt_i32_e32 vcc_lo, s22, v2
	v_cndmask_b32_e64 v28, 0, 1, vcc_lo
.LBB36_262:
	s_or_b32 exec_lo, exec_lo, s0
	v_or_b32_e32 v2, 0x500, v0
	v_mov_b32_e32 v27, 0
	v_cmp_gt_u32_e64 s11, s34, v2
	s_and_saveexec_b32 s0, s11
	s_cbranch_execz .LBB36_264
; %bb.263:
	v_lshlrev_b32_e32 v3, 2, v2
	s_abs_i32 s1, s23
	v_add_nc_u32_e32 v2, s33, v2
	s_sub_i32 s2, 0, s1
	global_load_dword v21, v3, s[16:17]
	v_cvt_f32_u32_e32 v3, s1
	v_sub_nc_u32_e32 v6, 0, v2
	v_rcp_iflag_f32_e32 v3, v3
	v_max_i32_e32 v6, v2, v6
	v_ashrrev_i32_e32 v2, 31, v2
	v_mul_f32_e32 v3, 0x4f7ffffe, v3
	v_cvt_u32_f32_e32 v3, v3
	v_mul_lo_u32 v4, s2, v3
	v_mul_hi_u32 v4, v3, v4
	v_add_nc_u32_e32 v3, v3, v4
	v_mul_hi_u32 v3, v6, v3
	v_mul_lo_u32 v3, v3, s1
	v_sub_nc_u32_e32 v3, v6, v3
	v_subrev_nc_u32_e32 v4, s1, v3
	v_cmp_le_u32_e32 vcc_lo, s1, v3
	v_cndmask_b32_e32 v3, v3, v4, vcc_lo
	v_subrev_nc_u32_e32 v4, s1, v3
	v_cmp_le_u32_e32 vcc_lo, s1, v3
	v_cndmask_b32_e32 v3, v3, v4, vcc_lo
	v_xor_b32_e32 v3, v3, v2
	v_sub_nc_u32_e32 v2, v3, v2
	v_cmp_gt_i32_e32 vcc_lo, s22, v2
	v_cndmask_b32_e64 v27, 0, 1, vcc_lo
.LBB36_264:
	s_or_b32 exec_lo, exec_lo, s0
	v_or_b32_e32 v2, 0x600, v0
	v_mov_b32_e32 v24, 0
	v_mov_b32_e32 v17, 0
	;; [unrolled: 1-line block ×3, first 2 shown]
	v_cmp_gt_u32_e64 s10, s34, v2
	s_and_saveexec_b32 s0, s10
	s_cbranch_execz .LBB36_266
; %bb.265:
	v_lshlrev_b32_e32 v3, 2, v2
	s_abs_i32 s1, s23
	v_add_nc_u32_e32 v2, s33, v2
	s_sub_i32 s2, 0, s1
	global_load_dword v22, v3, s[16:17]
	v_cvt_f32_u32_e32 v3, s1
	v_sub_nc_u32_e32 v6, 0, v2
	v_rcp_iflag_f32_e32 v3, v3
	v_max_i32_e32 v6, v2, v6
	v_ashrrev_i32_e32 v2, 31, v2
	v_mul_f32_e32 v3, 0x4f7ffffe, v3
	v_cvt_u32_f32_e32 v3, v3
	v_mul_lo_u32 v4, s2, v3
	v_mul_hi_u32 v4, v3, v4
	v_add_nc_u32_e32 v3, v3, v4
	v_mul_hi_u32 v3, v6, v3
	v_mul_lo_u32 v3, v3, s1
	v_sub_nc_u32_e32 v3, v6, v3
	v_subrev_nc_u32_e32 v4, s1, v3
	v_cmp_le_u32_e32 vcc_lo, s1, v3
	v_cndmask_b32_e32 v3, v3, v4, vcc_lo
	v_subrev_nc_u32_e32 v4, s1, v3
	v_cmp_le_u32_e32 vcc_lo, s1, v3
	v_cndmask_b32_e32 v3, v3, v4, vcc_lo
	v_xor_b32_e32 v3, v3, v2
	v_sub_nc_u32_e32 v2, v3, v2
	v_cmp_gt_i32_e32 vcc_lo, s22, v2
	v_cndmask_b32_e64 v24, 0, 1, vcc_lo
.LBB36_266:
	s_or_b32 exec_lo, exec_lo, s0
	v_or_b32_e32 v2, 0x700, v0
	v_mov_b32_e32 v23, 0
	v_cmp_gt_u32_e64 s9, s34, v2
	s_and_saveexec_b32 s0, s9
	s_cbranch_execz .LBB36_268
; %bb.267:
	v_lshlrev_b32_e32 v3, 2, v2
	s_abs_i32 s1, s23
	v_add_nc_u32_e32 v2, s33, v2
	s_sub_i32 s2, 0, s1
	global_load_dword v17, v3, s[16:17]
	v_cvt_f32_u32_e32 v3, s1
	v_sub_nc_u32_e32 v6, 0, v2
	v_rcp_iflag_f32_e32 v3, v3
	v_max_i32_e32 v6, v2, v6
	v_ashrrev_i32_e32 v2, 31, v2
	v_mul_f32_e32 v3, 0x4f7ffffe, v3
	v_cvt_u32_f32_e32 v3, v3
	v_mul_lo_u32 v4, s2, v3
	v_mul_hi_u32 v4, v3, v4
	v_add_nc_u32_e32 v3, v3, v4
	v_mul_hi_u32 v3, v6, v3
	v_mul_lo_u32 v3, v3, s1
	v_sub_nc_u32_e32 v3, v6, v3
	v_subrev_nc_u32_e32 v4, s1, v3
	v_cmp_le_u32_e32 vcc_lo, s1, v3
	v_cndmask_b32_e32 v3, v3, v4, vcc_lo
	v_subrev_nc_u32_e32 v4, s1, v3
	v_cmp_le_u32_e32 vcc_lo, s1, v3
	v_cndmask_b32_e32 v3, v3, v4, vcc_lo
	v_xor_b32_e32 v3, v3, v2
	v_sub_nc_u32_e32 v2, v3, v2
	v_cmp_gt_i32_e32 vcc_lo, s22, v2
	v_cndmask_b32_e64 v23, 0, 1, vcc_lo
.LBB36_268:
	s_or_b32 exec_lo, exec_lo, s0
	v_or_b32_e32 v2, 0x800, v0
	v_mov_b32_e32 v20, 0
	v_mov_b32_e32 v13, 0
	v_mov_b32_e32 v18, 0
	v_cmp_gt_u32_e64 s8, s34, v2
	s_and_saveexec_b32 s0, s8
	s_cbranch_execz .LBB36_270
; %bb.269:
	v_lshlrev_b32_e32 v3, 2, v2
	s_abs_i32 s1, s23
	v_add_nc_u32_e32 v2, s33, v2
	s_sub_i32 s2, 0, s1
	global_load_dword v18, v3, s[16:17]
	v_cvt_f32_u32_e32 v3, s1
	v_sub_nc_u32_e32 v6, 0, v2
	v_rcp_iflag_f32_e32 v3, v3
	v_max_i32_e32 v6, v2, v6
	v_ashrrev_i32_e32 v2, 31, v2
	v_mul_f32_e32 v3, 0x4f7ffffe, v3
	v_cvt_u32_f32_e32 v3, v3
	v_mul_lo_u32 v4, s2, v3
	v_mul_hi_u32 v4, v3, v4
	v_add_nc_u32_e32 v3, v3, v4
	v_mul_hi_u32 v3, v6, v3
	v_mul_lo_u32 v3, v3, s1
	v_sub_nc_u32_e32 v3, v6, v3
	v_subrev_nc_u32_e32 v4, s1, v3
	v_cmp_le_u32_e32 vcc_lo, s1, v3
	v_cndmask_b32_e32 v3, v3, v4, vcc_lo
	v_subrev_nc_u32_e32 v4, s1, v3
	v_cmp_le_u32_e32 vcc_lo, s1, v3
	v_cndmask_b32_e32 v3, v3, v4, vcc_lo
	v_xor_b32_e32 v3, v3, v2
	v_sub_nc_u32_e32 v2, v3, v2
	v_cmp_gt_i32_e32 vcc_lo, s22, v2
	v_cndmask_b32_e64 v20, 0, 1, vcc_lo
.LBB36_270:
	s_or_b32 exec_lo, exec_lo, s0
	v_or_b32_e32 v2, 0x900, v0
	v_mov_b32_e32 v19, 0
	v_cmp_gt_u32_e64 s5, s34, v2
	s_and_saveexec_b32 s0, s5
	s_cbranch_execz .LBB36_272
; %bb.271:
	v_lshlrev_b32_e32 v3, 2, v2
	s_abs_i32 s1, s23
	v_add_nc_u32_e32 v2, s33, v2
	s_sub_i32 s2, 0, s1
	global_load_dword v13, v3, s[16:17]
	v_cvt_f32_u32_e32 v3, s1
	v_sub_nc_u32_e32 v6, 0, v2
	v_rcp_iflag_f32_e32 v3, v3
	v_max_i32_e32 v6, v2, v6
	v_ashrrev_i32_e32 v2, 31, v2
	v_mul_f32_e32 v3, 0x4f7ffffe, v3
	v_cvt_u32_f32_e32 v3, v3
	v_mul_lo_u32 v4, s2, v3
	v_mul_hi_u32 v4, v3, v4
	v_add_nc_u32_e32 v3, v3, v4
	v_mul_hi_u32 v3, v6, v3
	v_mul_lo_u32 v3, v3, s1
	v_sub_nc_u32_e32 v3, v6, v3
	v_subrev_nc_u32_e32 v4, s1, v3
	v_cmp_le_u32_e32 vcc_lo, s1, v3
	v_cndmask_b32_e32 v3, v3, v4, vcc_lo
	v_subrev_nc_u32_e32 v4, s1, v3
	v_cmp_le_u32_e32 vcc_lo, s1, v3
	v_cndmask_b32_e32 v3, v3, v4, vcc_lo
	v_xor_b32_e32 v3, v3, v2
	v_sub_nc_u32_e32 v2, v3, v2
	v_cmp_gt_i32_e32 vcc_lo, s22, v2
	v_cndmask_b32_e64 v19, 0, 1, vcc_lo
.LBB36_272:
	s_or_b32 exec_lo, exec_lo, s0
	v_or_b32_e32 v2, 0xa00, v0
	v_mov_b32_e32 v16, 0
	v_mov_b32_e32 v10, 0
	;; [unrolled: 1-line block ×3, first 2 shown]
	v_cmp_gt_u32_e64 s4, s34, v2
	s_and_saveexec_b32 s0, s4
	s_cbranch_execz .LBB36_274
; %bb.273:
	v_lshlrev_b32_e32 v3, 2, v2
	s_abs_i32 s1, s23
	v_add_nc_u32_e32 v2, s33, v2
	s_sub_i32 s2, 0, s1
	global_load_dword v14, v3, s[16:17]
	v_cvt_f32_u32_e32 v3, s1
	v_sub_nc_u32_e32 v6, 0, v2
	v_rcp_iflag_f32_e32 v3, v3
	v_max_i32_e32 v6, v2, v6
	v_ashrrev_i32_e32 v2, 31, v2
	v_mul_f32_e32 v3, 0x4f7ffffe, v3
	v_cvt_u32_f32_e32 v3, v3
	v_mul_lo_u32 v4, s2, v3
	v_mul_hi_u32 v4, v3, v4
	v_add_nc_u32_e32 v3, v3, v4
	v_mul_hi_u32 v3, v6, v3
	v_mul_lo_u32 v3, v3, s1
	v_sub_nc_u32_e32 v3, v6, v3
	v_subrev_nc_u32_e32 v4, s1, v3
	v_cmp_le_u32_e32 vcc_lo, s1, v3
	v_cndmask_b32_e32 v3, v3, v4, vcc_lo
	v_subrev_nc_u32_e32 v4, s1, v3
	v_cmp_le_u32_e32 vcc_lo, s1, v3
	v_cndmask_b32_e32 v3, v3, v4, vcc_lo
	v_xor_b32_e32 v3, v3, v2
	v_sub_nc_u32_e32 v2, v3, v2
	v_cmp_gt_i32_e32 vcc_lo, s22, v2
	v_cndmask_b32_e64 v16, 0, 1, vcc_lo
.LBB36_274:
	s_or_b32 exec_lo, exec_lo, s0
	v_or_b32_e32 v2, 0xb00, v0
	v_mov_b32_e32 v15, 0
	v_cmp_gt_u32_e64 s3, s34, v2
	s_and_saveexec_b32 s0, s3
	s_cbranch_execz .LBB36_276
; %bb.275:
	v_lshlrev_b32_e32 v3, 2, v2
	s_abs_i32 s1, s23
	v_add_nc_u32_e32 v2, s33, v2
	s_sub_i32 s2, 0, s1
	global_load_dword v10, v3, s[16:17]
	v_cvt_f32_u32_e32 v3, s1
	v_sub_nc_u32_e32 v6, 0, v2
	v_rcp_iflag_f32_e32 v3, v3
	v_max_i32_e32 v6, v2, v6
	v_ashrrev_i32_e32 v2, 31, v2
	v_mul_f32_e32 v3, 0x4f7ffffe, v3
	v_cvt_u32_f32_e32 v3, v3
	v_mul_lo_u32 v4, s2, v3
	v_mul_hi_u32 v4, v3, v4
	v_add_nc_u32_e32 v3, v3, v4
	v_mul_hi_u32 v3, v6, v3
	v_mul_lo_u32 v3, v3, s1
	v_sub_nc_u32_e32 v3, v6, v3
	v_subrev_nc_u32_e32 v4, s1, v3
	v_cmp_le_u32_e32 vcc_lo, s1, v3
	v_cndmask_b32_e32 v3, v3, v4, vcc_lo
	v_subrev_nc_u32_e32 v4, s1, v3
	v_cmp_le_u32_e32 vcc_lo, s1, v3
	v_cndmask_b32_e32 v3, v3, v4, vcc_lo
	v_xor_b32_e32 v3, v3, v2
	v_sub_nc_u32_e32 v2, v3, v2
	v_cmp_gt_i32_e32 vcc_lo, s22, v2
	v_cndmask_b32_e64 v15, 0, 1, vcc_lo
.LBB36_276:
	s_or_b32 exec_lo, exec_lo, s0
	v_or_b32_e32 v2, 0xc00, v0
	v_mov_b32_e32 v11, 0
	v_mov_b32_e32 v8, 0
	;; [unrolled: 1-line block ×3, first 2 shown]
	v_cmp_gt_u32_e64 s2, s34, v2
	s_and_saveexec_b32 s0, s2
	s_cbranch_execz .LBB36_278
; %bb.277:
	v_lshlrev_b32_e32 v3, 2, v2
	s_abs_i32 s1, s23
	v_add_nc_u32_e32 v2, s33, v2
	s_sub_i32 s35, 0, s1
	global_load_dword v11, v3, s[16:17]
	v_cvt_f32_u32_e32 v3, s1
	v_sub_nc_u32_e32 v6, 0, v2
	v_rcp_iflag_f32_e32 v3, v3
	v_max_i32_e32 v6, v2, v6
	v_ashrrev_i32_e32 v2, 31, v2
	v_mul_f32_e32 v3, 0x4f7ffffe, v3
	v_cvt_u32_f32_e32 v3, v3
	v_mul_lo_u32 v4, s35, v3
	v_mul_hi_u32 v4, v3, v4
	v_add_nc_u32_e32 v3, v3, v4
	v_mul_hi_u32 v3, v6, v3
	v_mul_lo_u32 v3, v3, s1
	v_sub_nc_u32_e32 v3, v6, v3
	v_subrev_nc_u32_e32 v4, s1, v3
	v_cmp_le_u32_e32 vcc_lo, s1, v3
	v_cndmask_b32_e32 v3, v3, v4, vcc_lo
	v_subrev_nc_u32_e32 v4, s1, v3
	v_cmp_le_u32_e32 vcc_lo, s1, v3
	v_cndmask_b32_e32 v3, v3, v4, vcc_lo
	v_xor_b32_e32 v3, v3, v2
	v_sub_nc_u32_e32 v2, v3, v2
	v_cmp_gt_i32_e32 vcc_lo, s22, v2
	v_cndmask_b32_e64 v12, 0, 1, vcc_lo
.LBB36_278:
	s_or_b32 exec_lo, exec_lo, s0
	v_or_b32_e32 v2, 0xd00, v0
	v_mov_b32_e32 v7, 0
	v_cmp_gt_u32_e64 s1, s34, v2
	s_and_saveexec_b32 s0, s1
	s_cbranch_execz .LBB36_280
; %bb.279:
	v_lshlrev_b32_e32 v3, 2, v2
	s_abs_i32 s35, s23
	v_add_nc_u32_e32 v2, s33, v2
	s_sub_i32 s36, 0, s35
	global_load_dword v7, v3, s[16:17]
	v_cvt_f32_u32_e32 v3, s35
	v_sub_nc_u32_e32 v6, 0, v2
	v_rcp_iflag_f32_e32 v3, v3
	v_max_i32_e32 v6, v2, v6
	v_ashrrev_i32_e32 v2, 31, v2
	v_mul_f32_e32 v3, 0x4f7ffffe, v3
	v_cvt_u32_f32_e32 v3, v3
	v_mul_lo_u32 v4, s36, v3
	v_mul_hi_u32 v4, v3, v4
	v_add_nc_u32_e32 v3, v3, v4
	v_mul_hi_u32 v3, v6, v3
	v_mul_lo_u32 v3, v3, s35
	v_sub_nc_u32_e32 v3, v6, v3
	v_subrev_nc_u32_e32 v4, s35, v3
	v_cmp_le_u32_e32 vcc_lo, s35, v3
	v_cndmask_b32_e32 v3, v3, v4, vcc_lo
	v_subrev_nc_u32_e32 v4, s35, v3
	v_cmp_le_u32_e32 vcc_lo, s35, v3
	v_cndmask_b32_e32 v3, v3, v4, vcc_lo
	v_xor_b32_e32 v3, v3, v2
	v_sub_nc_u32_e32 v2, v3, v2
	v_cmp_gt_i32_e32 vcc_lo, s22, v2
	v_cndmask_b32_e64 v8, 0, 1, vcc_lo
.LBB36_280:
	s_or_b32 exec_lo, exec_lo, s0
	v_or_b32_e32 v2, 0xe00, v0
	v_mov_b32_e32 v6, 0
	v_mov_b32_e32 v4, 0
	v_mov_b32_e32 v9, 0
	v_cmp_gt_u32_e64 s0, s34, v2
	s_and_saveexec_b32 s35, s0
	s_cbranch_execz .LBB36_282
; %bb.281:
	v_lshlrev_b32_e32 v3, 2, v2
	s_abs_i32 s36, s23
	v_add_nc_u32_e32 v2, s33, v2
	s_sub_i32 s37, 0, s36
	global_load_dword v6, v3, s[16:17]
	v_cvt_f32_u32_e32 v3, s36
	v_sub_nc_u32_e32 v34, 0, v2
	v_rcp_iflag_f32_e32 v3, v3
	v_max_i32_e32 v34, v2, v34
	v_ashrrev_i32_e32 v2, 31, v2
	v_mul_f32_e32 v3, 0x4f7ffffe, v3
	v_cvt_u32_f32_e32 v3, v3
	v_mul_lo_u32 v9, s37, v3
	v_mul_hi_u32 v9, v3, v9
	v_add_nc_u32_e32 v3, v3, v9
	v_mul_hi_u32 v3, v34, v3
	v_mul_lo_u32 v3, v3, s36
	v_sub_nc_u32_e32 v3, v34, v3
	v_subrev_nc_u32_e32 v9, s36, v3
	v_cmp_le_u32_e32 vcc_lo, s36, v3
	v_cndmask_b32_e32 v3, v3, v9, vcc_lo
	v_subrev_nc_u32_e32 v9, s36, v3
	v_cmp_le_u32_e32 vcc_lo, s36, v3
	v_cndmask_b32_e32 v3, v3, v9, vcc_lo
	v_xor_b32_e32 v3, v3, v2
	v_sub_nc_u32_e32 v2, v3, v2
	v_cmp_gt_i32_e32 vcc_lo, s22, v2
	v_cndmask_b32_e64 v9, 0, 1, vcc_lo
.LBB36_282:
	s_or_b32 exec_lo, exec_lo, s35
	v_or_b32_e32 v2, 0xf00, v0
	v_mov_b32_e32 v3, 0
	v_cmp_gt_u32_e32 vcc_lo, s34, v2
	s_and_saveexec_b32 s35, vcc_lo
	s_cbranch_execnz .LBB36_322
; %bb.283:
	s_or_b32 exec_lo, exec_lo, s35
	s_waitcnt vmcnt(0)
	v_mov_b32_e32 v2, v1
	s_and_saveexec_b32 s17, s15
	s_cbranch_execnz .LBB36_323
.LBB36_284:
	s_or_b32 exec_lo, exec_lo, s17
	s_and_saveexec_b32 s16, s14
	s_cbranch_execnz .LBB36_330
.LBB36_285:
	s_or_b32 exec_lo, exec_lo, s16
	s_and_saveexec_b32 s15, s13
	s_cbranch_execnz .LBB36_337
.LBB36_286:
	s_or_b32 exec_lo, exec_lo, s15
	s_and_saveexec_b32 s14, s12
	s_cbranch_execnz .LBB36_344
.LBB36_287:
	s_or_b32 exec_lo, exec_lo, s14
	s_and_saveexec_b32 s13, s11
	s_cbranch_execnz .LBB36_351
.LBB36_288:
	s_or_b32 exec_lo, exec_lo, s13
	s_and_saveexec_b32 s12, s10
	s_cbranch_execnz .LBB36_358
.LBB36_289:
	s_or_b32 exec_lo, exec_lo, s12
	s_and_saveexec_b32 s11, s9
	s_cbranch_execnz .LBB36_365
.LBB36_290:
	s_or_b32 exec_lo, exec_lo, s11
	s_and_saveexec_b32 s10, s8
	s_cbranch_execnz .LBB36_372
.LBB36_291:
	s_or_b32 exec_lo, exec_lo, s10
	s_and_saveexec_b32 s9, s5
	s_cbranch_execnz .LBB36_379
.LBB36_292:
	s_or_b32 exec_lo, exec_lo, s9
	s_and_saveexec_b32 s8, s4
	s_cbranch_execnz .LBB36_386
.LBB36_293:
	s_or_b32 exec_lo, exec_lo, s8
	s_and_saveexec_b32 s5, s3
	s_cbranch_execnz .LBB36_393
.LBB36_294:
	s_or_b32 exec_lo, exec_lo, s5
	s_and_saveexec_b32 s4, s2
	s_cbranch_execnz .LBB36_400
.LBB36_295:
	s_or_b32 exec_lo, exec_lo, s4
	s_and_saveexec_b32 s3, s1
	s_cbranch_execnz .LBB36_407
.LBB36_296:
	s_or_b32 exec_lo, exec_lo, s3
	s_and_saveexec_b32 s2, s0
	s_cbranch_execnz .LBB36_414
.LBB36_297:
	s_or_b32 exec_lo, exec_lo, s2
	s_and_saveexec_b32 s1, vcc_lo
	s_cbranch_execnz .LBB36_421
	s_branch .LBB36_428
.LBB36_298:
	s_mov_b32 s0, -1
                                        ; implicit-def: $vgpr2
                                        ; implicit-def: $vgpr5
.LBB36_299:
	s_and_b32 vcc_lo, exec_lo, s0
	s_cbranch_vccz .LBB36_626
; %bb.300:
	v_mov_b32_e32 v5, 0
	v_mov_b32_e32 v13, 0
	s_waitcnt lgkmcnt(1)
	v_mov_b32_e32 v1, 0
	s_sub_i32 s12, s24, s2
	s_mov_b32 s0, exec_lo
	v_cmpx_gt_u32_e64 s12, v0
	s_cbranch_execz .LBB36_302
; %bb.301:
	v_lshlrev_b32_e32 v1, 2, v0
	s_abs_i32 s1, s23
	v_add_nc_u32_e32 v4, s11, v0
	s_waitcnt lgkmcnt(0)
	v_cvt_f32_u32_e32 v2, s1
	s_sub_i32 s2, 0, s1
	global_load_dword v1, v1, s[8:9]
	v_sub_nc_u32_e32 v5, 0, v4
	v_rcp_iflag_f32_e32 v2, v2
	v_max_i32_e32 v5, v4, v5
	v_ashrrev_i32_e32 v4, 31, v4
	v_mul_f32_e32 v2, 0x4f7ffffe, v2
	v_cvt_u32_f32_e32 v2, v2
	v_mul_lo_u32 v3, s2, v2
	v_mul_hi_u32 v3, v2, v3
	v_add_nc_u32_e32 v2, v2, v3
	v_mul_hi_u32 v2, v5, v2
	v_mul_lo_u32 v2, v2, s1
	v_sub_nc_u32_e32 v2, v5, v2
	v_subrev_nc_u32_e32 v3, s1, v2
	v_cmp_le_u32_e32 vcc_lo, s1, v2
	v_cndmask_b32_e32 v2, v2, v3, vcc_lo
	v_subrev_nc_u32_e32 v3, s1, v2
	v_cmp_le_u32_e32 vcc_lo, s1, v2
	v_cndmask_b32_e32 v2, v2, v3, vcc_lo
	v_xor_b32_e32 v2, v2, v4
	v_sub_nc_u32_e32 v2, v2, v4
	v_cmp_gt_i32_e32 vcc_lo, s22, v2
	v_cndmask_b32_e64 v5, 0, 1, vcc_lo
.LBB36_302:
	s_or_b32 exec_lo, exec_lo, s0
	s_waitcnt lgkmcnt(0)
	v_or_b32_e32 v2, 0x100, v0
	v_mov_b32_e32 v17, 0
	v_cmp_gt_u32_e64 s5, s12, v2
	s_and_saveexec_b32 s0, s5
	s_cbranch_execz .LBB36_304
; %bb.303:
	v_lshlrev_b32_e32 v3, 2, v0
	s_abs_i32 s1, s23
	v_add_nc_u32_e32 v2, s11, v2
	s_sub_i32 s2, 0, s1
	global_load_dword v13, v3, s[8:9] offset:1024
	v_cvt_f32_u32_e32 v3, s1
	v_sub_nc_u32_e32 v6, 0, v2
	v_rcp_iflag_f32_e32 v3, v3
	v_max_i32_e32 v6, v2, v6
	v_ashrrev_i32_e32 v2, 31, v2
	v_mul_f32_e32 v3, 0x4f7ffffe, v3
	v_cvt_u32_f32_e32 v3, v3
	v_mul_lo_u32 v4, s2, v3
	v_mul_hi_u32 v4, v3, v4
	v_add_nc_u32_e32 v3, v3, v4
	v_mul_hi_u32 v3, v6, v3
	v_mul_lo_u32 v3, v3, s1
	v_sub_nc_u32_e32 v3, v6, v3
	v_subrev_nc_u32_e32 v4, s1, v3
	v_cmp_le_u32_e32 vcc_lo, s1, v3
	v_cndmask_b32_e32 v3, v3, v4, vcc_lo
	v_subrev_nc_u32_e32 v4, s1, v3
	v_cmp_le_u32_e32 vcc_lo, s1, v3
	v_cndmask_b32_e32 v3, v3, v4, vcc_lo
	v_xor_b32_e32 v3, v3, v2
	v_sub_nc_u32_e32 v2, v3, v2
	v_cmp_gt_i32_e32 vcc_lo, s22, v2
	v_cndmask_b32_e64 v17, 0, 1, vcc_lo
.LBB36_304:
	s_or_b32 exec_lo, exec_lo, s0
	v_or_b32_e32 v2, 0x200, v0
	v_mov_b32_e32 v16, 0
	v_mov_b32_e32 v9, 0
	;; [unrolled: 1-line block ×3, first 2 shown]
	v_cmp_gt_u32_e64 s4, s12, v2
	s_and_saveexec_b32 s0, s4
	s_cbranch_execz .LBB36_306
; %bb.305:
	v_lshlrev_b32_e32 v3, 2, v2
	s_abs_i32 s1, s23
	v_add_nc_u32_e32 v2, s11, v2
	s_sub_i32 s2, 0, s1
	global_load_dword v14, v3, s[8:9]
	v_cvt_f32_u32_e32 v3, s1
	v_sub_nc_u32_e32 v6, 0, v2
	v_rcp_iflag_f32_e32 v3, v3
	v_max_i32_e32 v6, v2, v6
	v_ashrrev_i32_e32 v2, 31, v2
	v_mul_f32_e32 v3, 0x4f7ffffe, v3
	v_cvt_u32_f32_e32 v3, v3
	v_mul_lo_u32 v4, s2, v3
	v_mul_hi_u32 v4, v3, v4
	v_add_nc_u32_e32 v3, v3, v4
	v_mul_hi_u32 v3, v6, v3
	v_mul_lo_u32 v3, v3, s1
	v_sub_nc_u32_e32 v3, v6, v3
	v_subrev_nc_u32_e32 v4, s1, v3
	v_cmp_le_u32_e32 vcc_lo, s1, v3
	v_cndmask_b32_e32 v3, v3, v4, vcc_lo
	v_subrev_nc_u32_e32 v4, s1, v3
	v_cmp_le_u32_e32 vcc_lo, s1, v3
	v_cndmask_b32_e32 v3, v3, v4, vcc_lo
	v_xor_b32_e32 v3, v3, v2
	v_sub_nc_u32_e32 v2, v3, v2
	v_cmp_gt_i32_e32 vcc_lo, s22, v2
	v_cndmask_b32_e64 v16, 0, 1, vcc_lo
.LBB36_306:
	s_or_b32 exec_lo, exec_lo, s0
	v_or_b32_e32 v2, 0x300, v0
	v_mov_b32_e32 v15, 0
	v_cmp_gt_u32_e64 s3, s12, v2
	s_and_saveexec_b32 s0, s3
	s_cbranch_execz .LBB36_308
; %bb.307:
	v_lshlrev_b32_e32 v3, 2, v2
	s_abs_i32 s1, s23
	v_add_nc_u32_e32 v2, s11, v2
	s_sub_i32 s2, 0, s1
	global_load_dword v9, v3, s[8:9]
	v_cvt_f32_u32_e32 v3, s1
	v_sub_nc_u32_e32 v6, 0, v2
	v_rcp_iflag_f32_e32 v3, v3
	v_max_i32_e32 v6, v2, v6
	v_ashrrev_i32_e32 v2, 31, v2
	v_mul_f32_e32 v3, 0x4f7ffffe, v3
	v_cvt_u32_f32_e32 v3, v3
	v_mul_lo_u32 v4, s2, v3
	v_mul_hi_u32 v4, v3, v4
	v_add_nc_u32_e32 v3, v3, v4
	v_mul_hi_u32 v3, v6, v3
	v_mul_lo_u32 v3, v3, s1
	v_sub_nc_u32_e32 v3, v6, v3
	v_subrev_nc_u32_e32 v4, s1, v3
	v_cmp_le_u32_e32 vcc_lo, s1, v3
	v_cndmask_b32_e32 v3, v3, v4, vcc_lo
	v_subrev_nc_u32_e32 v4, s1, v3
	v_cmp_le_u32_e32 vcc_lo, s1, v3
	v_cndmask_b32_e32 v3, v3, v4, vcc_lo
	v_xor_b32_e32 v3, v3, v2
	v_sub_nc_u32_e32 v2, v3, v2
	v_cmp_gt_i32_e32 vcc_lo, s22, v2
	v_cndmask_b32_e64 v15, 0, 1, vcc_lo
.LBB36_308:
	s_or_b32 exec_lo, exec_lo, s0
	v_or_b32_e32 v2, 0x400, v0
	v_mov_b32_e32 v12, 0
	v_mov_b32_e32 v6, 0
	;; [unrolled: 1-line block ×3, first 2 shown]
	v_cmp_gt_u32_e64 s2, s12, v2
	s_and_saveexec_b32 s0, s2
	s_cbranch_execz .LBB36_310
; %bb.309:
	v_lshlrev_b32_e32 v3, 2, v2
	s_abs_i32 s1, s23
	v_add_nc_u32_e32 v2, s11, v2
	s_sub_i32 s13, 0, s1
	global_load_dword v10, v3, s[8:9]
	v_cvt_f32_u32_e32 v3, s1
	v_sub_nc_u32_e32 v7, 0, v2
	v_rcp_iflag_f32_e32 v3, v3
	v_max_i32_e32 v7, v2, v7
	v_ashrrev_i32_e32 v2, 31, v2
	v_mul_f32_e32 v3, 0x4f7ffffe, v3
	v_cvt_u32_f32_e32 v3, v3
	v_mul_lo_u32 v4, s13, v3
	v_mul_hi_u32 v4, v3, v4
	v_add_nc_u32_e32 v3, v3, v4
	v_mul_hi_u32 v3, v7, v3
	v_mul_lo_u32 v3, v3, s1
	v_sub_nc_u32_e32 v3, v7, v3
	v_subrev_nc_u32_e32 v4, s1, v3
	v_cmp_le_u32_e32 vcc_lo, s1, v3
	v_cndmask_b32_e32 v3, v3, v4, vcc_lo
	v_subrev_nc_u32_e32 v4, s1, v3
	v_cmp_le_u32_e32 vcc_lo, s1, v3
	v_cndmask_b32_e32 v3, v3, v4, vcc_lo
	v_xor_b32_e32 v3, v3, v2
	v_sub_nc_u32_e32 v2, v3, v2
	v_cmp_gt_i32_e32 vcc_lo, s22, v2
	v_cndmask_b32_e64 v12, 0, 1, vcc_lo
.LBB36_310:
	s_or_b32 exec_lo, exec_lo, s0
	v_or_b32_e32 v2, 0x500, v0
	v_mov_b32_e32 v11, 0
	v_cmp_gt_u32_e64 s1, s12, v2
	s_and_saveexec_b32 s0, s1
	s_cbranch_execz .LBB36_312
; %bb.311:
	v_lshlrev_b32_e32 v3, 2, v2
	s_abs_i32 s13, s23
	v_add_nc_u32_e32 v2, s11, v2
	s_sub_i32 s14, 0, s13
	global_load_dword v6, v3, s[8:9]
	v_cvt_f32_u32_e32 v3, s13
	v_sub_nc_u32_e32 v7, 0, v2
	v_rcp_iflag_f32_e32 v3, v3
	v_max_i32_e32 v7, v2, v7
	v_ashrrev_i32_e32 v2, 31, v2
	v_mul_f32_e32 v3, 0x4f7ffffe, v3
	v_cvt_u32_f32_e32 v3, v3
	v_mul_lo_u32 v4, s14, v3
	v_mul_hi_u32 v4, v3, v4
	v_add_nc_u32_e32 v3, v3, v4
	v_mul_hi_u32 v3, v7, v3
	v_mul_lo_u32 v3, v3, s13
	v_sub_nc_u32_e32 v3, v7, v3
	v_subrev_nc_u32_e32 v4, s13, v3
	v_cmp_le_u32_e32 vcc_lo, s13, v3
	v_cndmask_b32_e32 v3, v3, v4, vcc_lo
	v_subrev_nc_u32_e32 v4, s13, v3
	v_cmp_le_u32_e32 vcc_lo, s13, v3
	v_cndmask_b32_e32 v3, v3, v4, vcc_lo
	v_xor_b32_e32 v3, v3, v2
	v_sub_nc_u32_e32 v2, v3, v2
	v_cmp_gt_i32_e32 vcc_lo, s22, v2
	v_cndmask_b32_e64 v11, 0, 1, vcc_lo
.LBB36_312:
	s_or_b32 exec_lo, exec_lo, s0
	v_or_b32_e32 v2, 0x600, v0
	v_mov_b32_e32 v7, 0
	v_mov_b32_e32 v4, 0
	;; [unrolled: 1-line block ×3, first 2 shown]
	v_cmp_gt_u32_e64 s0, s12, v2
	s_and_saveexec_b32 s13, s0
	s_cbranch_execz .LBB36_314
; %bb.313:
	v_lshlrev_b32_e32 v3, 2, v2
	s_abs_i32 s14, s23
	v_add_nc_u32_e32 v2, s11, v2
	s_sub_i32 s15, 0, s14
	global_load_dword v7, v3, s[8:9]
	v_cvt_f32_u32_e32 v3, s14
	v_sub_nc_u32_e32 v18, 0, v2
	v_rcp_iflag_f32_e32 v3, v3
	v_max_i32_e32 v18, v2, v18
	v_ashrrev_i32_e32 v2, 31, v2
	v_mul_f32_e32 v3, 0x4f7ffffe, v3
	v_cvt_u32_f32_e32 v3, v3
	v_mul_lo_u32 v8, s15, v3
	v_mul_hi_u32 v8, v3, v8
	v_add_nc_u32_e32 v3, v3, v8
	v_mul_hi_u32 v3, v18, v3
	v_mul_lo_u32 v3, v3, s14
	v_sub_nc_u32_e32 v3, v18, v3
	v_subrev_nc_u32_e32 v8, s14, v3
	v_cmp_le_u32_e32 vcc_lo, s14, v3
	v_cndmask_b32_e32 v3, v3, v8, vcc_lo
	v_subrev_nc_u32_e32 v8, s14, v3
	v_cmp_le_u32_e32 vcc_lo, s14, v3
	v_cndmask_b32_e32 v3, v3, v8, vcc_lo
	v_xor_b32_e32 v3, v3, v2
	v_sub_nc_u32_e32 v2, v3, v2
	v_cmp_gt_i32_e32 vcc_lo, s22, v2
	v_cndmask_b32_e64 v8, 0, 1, vcc_lo
.LBB36_314:
	s_or_b32 exec_lo, exec_lo, s13
	v_or_b32_e32 v2, 0x700, v0
	v_mov_b32_e32 v3, 0
	v_cmp_gt_u32_e32 vcc_lo, s12, v2
	s_and_saveexec_b32 s13, vcc_lo
	s_cbranch_execnz .LBB36_507
; %bb.315:
	s_or_b32 exec_lo, exec_lo, s13
	s_waitcnt vmcnt(0)
	v_mov_b32_e32 v2, v1
	s_and_saveexec_b32 s9, s5
	s_cbranch_execnz .LBB36_508
.LBB36_316:
	s_or_b32 exec_lo, exec_lo, s9
	s_and_saveexec_b32 s8, s4
	s_cbranch_execnz .LBB36_515
.LBB36_317:
	s_or_b32 exec_lo, exec_lo, s8
	s_and_saveexec_b32 s5, s3
	s_cbranch_execnz .LBB36_522
.LBB36_318:
	s_or_b32 exec_lo, exec_lo, s5
	s_and_saveexec_b32 s4, s2
	s_cbranch_execnz .LBB36_529
.LBB36_319:
	s_or_b32 exec_lo, exec_lo, s4
	s_and_saveexec_b32 s3, s1
	s_cbranch_execnz .LBB36_536
.LBB36_320:
	s_or_b32 exec_lo, exec_lo, s3
	s_and_saveexec_b32 s2, s0
	s_cbranch_execnz .LBB36_543
.LBB36_321:
	s_or_b32 exec_lo, exec_lo, s2
	s_and_saveexec_b32 s1, vcc_lo
	s_cbranch_execnz .LBB36_550
	s_branch .LBB36_557
.LBB36_322:
	v_lshlrev_b32_e32 v3, 2, v2
	v_add_nc_u32_e32 v2, s33, v2
	global_load_dword v3, v3, s[16:17]
	s_abs_i32 s17, s23
	v_sub_nc_u32_e32 v35, 0, v2
	v_cvt_f32_u32_e32 v4, s17
	s_sub_i32 s16, 0, s17
	v_max_i32_e32 v35, v2, v35
	v_rcp_iflag_f32_e32 v4, v4
	v_ashrrev_i32_e32 v2, 31, v2
	v_mul_f32_e32 v4, 0x4f7ffffe, v4
	v_cvt_u32_f32_e32 v4, v4
	v_mul_lo_u32 v34, s16, v4
	v_mul_hi_u32 v34, v4, v34
	v_add_nc_u32_e32 v4, v4, v34
	v_mul_hi_u32 v4, v35, v4
	v_mul_lo_u32 v4, v4, s17
	v_sub_nc_u32_e32 v4, v35, v4
	v_subrev_nc_u32_e32 v34, s17, v4
	v_cmp_le_u32_e64 s16, s17, v4
	v_cndmask_b32_e64 v4, v4, v34, s16
	v_subrev_nc_u32_e32 v34, s17, v4
	v_cmp_le_u32_e64 s16, s17, v4
	v_cndmask_b32_e64 v4, v4, v34, s16
	v_xor_b32_e32 v4, v4, v2
	v_sub_nc_u32_e32 v2, v4, v2
	v_cmp_gt_i32_e64 s16, s22, v2
	v_cndmask_b32_e64 v4, 0, 1, s16
	s_or_b32 exec_lo, exec_lo, s35
	s_waitcnt vmcnt(1)
	v_mov_b32_e32 v2, v1
	s_and_saveexec_b32 s17, s15
	s_cbranch_execz .LBB36_284
.LBB36_323:
	v_and_b32_e32 v2, 1, v5
	v_and_b32_e32 v5, 1, v33
	v_cmp_eq_u32_e64 s15, 1, v2
	v_cmp_eq_u32_e64 s16, 1, v5
                                        ; implicit-def: $vgpr5
	s_and_b32 s16, s15, s16
	s_xor_b32 s16, s16, -1
	s_and_saveexec_b32 s33, s16
	s_xor_b32 s16, exec_lo, s33
	s_cbranch_execz .LBB36_327
; %bb.324:
	v_mov_b32_e32 v5, 1
	s_xor_b32 s33, s15, -1
	s_and_saveexec_b32 s15, s33
; %bb.325:
	v_and_b32_e32 v5, 0xffff, v33
	v_mov_b32_e32 v1, v29
; %bb.326:
	s_or_b32 exec_lo, exec_lo, s15
                                        ; implicit-def: $vgpr29
.LBB36_327:
	s_or_saveexec_b32 s16, s16
	v_mov_b32_e32 v33, v1
	s_xor_b32 exec_lo, exec_lo, s16
; %bb.328:
	v_cmp_lt_f32_e64 s15, v29, v1
	v_mov_b32_e32 v5, 1
	v_cndmask_b32_e64 v33, v1, v29, s15
	v_cmp_lt_f32_e64 s15, v1, v29
	v_cndmask_b32_e64 v1, v1, v29, s15
; %bb.329:
	s_or_b32 exec_lo, exec_lo, s16
	v_mov_b32_e32 v2, v1
	v_mov_b32_e32 v1, v33
	s_or_b32 exec_lo, exec_lo, s17
	s_and_saveexec_b32 s16, s14
	s_cbranch_execz .LBB36_285
.LBB36_330:
	v_and_b32_e32 v5, 1, v5
	v_and_b32_e32 v29, 1, v32
	v_cmp_eq_u32_e64 s14, 1, v5
	v_cmp_eq_u32_e64 s15, 1, v29
                                        ; implicit-def: $vgpr5
	s_and_b32 s15, s14, s15
	s_xor_b32 s15, s15, -1
	s_and_saveexec_b32 s17, s15
	s_xor_b32 s15, exec_lo, s17
	s_cbranch_execz .LBB36_334
; %bb.331:
	v_mov_b32_e32 v5, 1
	s_xor_b32 s17, s14, -1
	s_and_saveexec_b32 s14, s17
; %bb.332:
	v_and_b32_e32 v5, 0xffff, v32
	v_mov_b32_e32 v2, v30
	v_mov_b32_e32 v1, v30
; %bb.333:
	s_or_b32 exec_lo, exec_lo, s14
                                        ; implicit-def: $vgpr30
.LBB36_334:
	s_andn2_saveexec_b32 s15, s15
; %bb.335:
	v_cmp_lt_f32_e64 s14, v30, v1
	v_mov_b32_e32 v5, 1
	v_cndmask_b32_e64 v1, v1, v30, s14
	v_cmp_lt_f32_e64 s14, v2, v30
	v_cndmask_b32_e64 v2, v2, v30, s14
; %bb.336:
	s_or_b32 exec_lo, exec_lo, s15
	s_or_b32 exec_lo, exec_lo, s16
	s_and_saveexec_b32 s15, s13
	s_cbranch_execz .LBB36_286
.LBB36_337:
	v_and_b32_e32 v5, 1, v5
	v_and_b32_e32 v29, 1, v31
	v_cmp_eq_u32_e64 s13, 1, v5
	v_cmp_eq_u32_e64 s14, 1, v29
                                        ; implicit-def: $vgpr5
	s_and_b32 s14, s13, s14
	s_xor_b32 s14, s14, -1
	s_and_saveexec_b32 s16, s14
	s_xor_b32 s14, exec_lo, s16
	s_cbranch_execz .LBB36_341
; %bb.338:
	v_mov_b32_e32 v5, 1
	s_xor_b32 s16, s13, -1
	s_and_saveexec_b32 s13, s16
; %bb.339:
	v_and_b32_e32 v5, 0xffff, v31
	v_mov_b32_e32 v2, v25
	v_mov_b32_e32 v1, v25
; %bb.340:
	s_or_b32 exec_lo, exec_lo, s13
                                        ; implicit-def: $vgpr25
.LBB36_341:
	s_andn2_saveexec_b32 s14, s14
; %bb.342:
	v_cmp_lt_f32_e64 s13, v25, v1
	v_mov_b32_e32 v5, 1
	v_cndmask_b32_e64 v1, v1, v25, s13
	v_cmp_lt_f32_e64 s13, v2, v25
	v_cndmask_b32_e64 v2, v2, v25, s13
; %bb.343:
	s_or_b32 exec_lo, exec_lo, s14
	s_or_b32 exec_lo, exec_lo, s15
	s_and_saveexec_b32 s14, s12
	s_cbranch_execz .LBB36_287
.LBB36_344:
	v_and_b32_e32 v5, 1, v5
	v_and_b32_e32 v25, 1, v28
	v_cmp_eq_u32_e64 s12, 1, v5
	v_cmp_eq_u32_e64 s13, 1, v25
                                        ; implicit-def: $vgpr5
	s_and_b32 s13, s12, s13
	s_xor_b32 s13, s13, -1
	s_and_saveexec_b32 s15, s13
	s_xor_b32 s13, exec_lo, s15
	s_cbranch_execz .LBB36_348
; %bb.345:
	v_mov_b32_e32 v5, 1
	s_xor_b32 s15, s12, -1
	s_and_saveexec_b32 s12, s15
; %bb.346:
	v_and_b32_e32 v5, 0xffff, v28
	v_mov_b32_e32 v2, v26
	v_mov_b32_e32 v1, v26
; %bb.347:
	s_or_b32 exec_lo, exec_lo, s12
                                        ; implicit-def: $vgpr26
.LBB36_348:
	s_andn2_saveexec_b32 s13, s13
; %bb.349:
	v_cmp_lt_f32_e64 s12, v26, v1
	v_mov_b32_e32 v5, 1
	v_cndmask_b32_e64 v1, v1, v26, s12
	v_cmp_lt_f32_e64 s12, v2, v26
	v_cndmask_b32_e64 v2, v2, v26, s12
; %bb.350:
	s_or_b32 exec_lo, exec_lo, s13
	s_or_b32 exec_lo, exec_lo, s14
	s_and_saveexec_b32 s13, s11
	s_cbranch_execz .LBB36_288
.LBB36_351:
	v_and_b32_e32 v5, 1, v5
	v_and_b32_e32 v25, 1, v27
	v_cmp_eq_u32_e64 s11, 1, v5
	v_cmp_eq_u32_e64 s12, 1, v25
                                        ; implicit-def: $vgpr5
	s_and_b32 s12, s11, s12
	s_xor_b32 s12, s12, -1
	s_and_saveexec_b32 s14, s12
	s_xor_b32 s12, exec_lo, s14
	s_cbranch_execz .LBB36_355
; %bb.352:
	v_mov_b32_e32 v5, 1
	s_xor_b32 s14, s11, -1
	s_and_saveexec_b32 s11, s14
; %bb.353:
	v_and_b32_e32 v5, 0xffff, v27
	v_mov_b32_e32 v2, v21
	v_mov_b32_e32 v1, v21
; %bb.354:
	s_or_b32 exec_lo, exec_lo, s11
                                        ; implicit-def: $vgpr21
.LBB36_355:
	s_andn2_saveexec_b32 s12, s12
; %bb.356:
	v_cmp_lt_f32_e64 s11, v21, v1
	v_mov_b32_e32 v5, 1
	v_cndmask_b32_e64 v1, v1, v21, s11
	v_cmp_lt_f32_e64 s11, v2, v21
	v_cndmask_b32_e64 v2, v2, v21, s11
; %bb.357:
	s_or_b32 exec_lo, exec_lo, s12
	s_or_b32 exec_lo, exec_lo, s13
	s_and_saveexec_b32 s12, s10
	s_cbranch_execz .LBB36_289
.LBB36_358:
	v_and_b32_e32 v5, 1, v5
	v_and_b32_e32 v21, 1, v24
	v_cmp_eq_u32_e64 s10, 1, v5
	v_cmp_eq_u32_e64 s11, 1, v21
                                        ; implicit-def: $vgpr5
	s_and_b32 s11, s10, s11
	s_xor_b32 s11, s11, -1
	s_and_saveexec_b32 s13, s11
	s_xor_b32 s11, exec_lo, s13
	s_cbranch_execz .LBB36_362
; %bb.359:
	v_mov_b32_e32 v5, 1
	s_xor_b32 s13, s10, -1
	s_and_saveexec_b32 s10, s13
; %bb.360:
	v_and_b32_e32 v5, 0xffff, v24
	v_mov_b32_e32 v2, v22
	v_mov_b32_e32 v1, v22
; %bb.361:
	s_or_b32 exec_lo, exec_lo, s10
                                        ; implicit-def: $vgpr22
.LBB36_362:
	s_andn2_saveexec_b32 s11, s11
; %bb.363:
	v_cmp_lt_f32_e64 s10, v22, v1
	v_mov_b32_e32 v5, 1
	v_cndmask_b32_e64 v1, v1, v22, s10
	v_cmp_lt_f32_e64 s10, v2, v22
	v_cndmask_b32_e64 v2, v2, v22, s10
; %bb.364:
	s_or_b32 exec_lo, exec_lo, s11
	s_or_b32 exec_lo, exec_lo, s12
	s_and_saveexec_b32 s11, s9
	s_cbranch_execz .LBB36_290
.LBB36_365:
	v_and_b32_e32 v5, 1, v5
	v_and_b32_e32 v21, 1, v23
	v_cmp_eq_u32_e64 s9, 1, v5
	v_cmp_eq_u32_e64 s10, 1, v21
                                        ; implicit-def: $vgpr5
	s_and_b32 s10, s9, s10
	s_xor_b32 s10, s10, -1
	s_and_saveexec_b32 s12, s10
	s_xor_b32 s10, exec_lo, s12
	s_cbranch_execz .LBB36_369
; %bb.366:
	v_mov_b32_e32 v5, 1
	s_xor_b32 s12, s9, -1
	s_and_saveexec_b32 s9, s12
; %bb.367:
	v_and_b32_e32 v5, 0xffff, v23
	v_mov_b32_e32 v2, v17
	v_mov_b32_e32 v1, v17
; %bb.368:
	s_or_b32 exec_lo, exec_lo, s9
                                        ; implicit-def: $vgpr17
.LBB36_369:
	s_andn2_saveexec_b32 s10, s10
; %bb.370:
	v_cmp_lt_f32_e64 s9, v17, v1
	v_mov_b32_e32 v5, 1
	v_cndmask_b32_e64 v1, v1, v17, s9
	v_cmp_lt_f32_e64 s9, v2, v17
	v_cndmask_b32_e64 v2, v2, v17, s9
; %bb.371:
	s_or_b32 exec_lo, exec_lo, s10
	s_or_b32 exec_lo, exec_lo, s11
	s_and_saveexec_b32 s10, s8
	s_cbranch_execz .LBB36_291
.LBB36_372:
	v_and_b32_e32 v5, 1, v5
	v_and_b32_e32 v17, 1, v20
	v_cmp_eq_u32_e64 s8, 1, v5
	v_cmp_eq_u32_e64 s9, 1, v17
                                        ; implicit-def: $vgpr5
	s_and_b32 s9, s8, s9
	s_xor_b32 s9, s9, -1
	s_and_saveexec_b32 s11, s9
	s_xor_b32 s9, exec_lo, s11
	s_cbranch_execz .LBB36_376
; %bb.373:
	v_mov_b32_e32 v5, 1
	s_xor_b32 s11, s8, -1
	s_and_saveexec_b32 s8, s11
; %bb.374:
	v_and_b32_e32 v5, 0xffff, v20
	v_mov_b32_e32 v2, v18
	v_mov_b32_e32 v1, v18
; %bb.375:
	s_or_b32 exec_lo, exec_lo, s8
                                        ; implicit-def: $vgpr18
.LBB36_376:
	s_andn2_saveexec_b32 s9, s9
; %bb.377:
	v_cmp_lt_f32_e64 s8, v18, v1
	v_mov_b32_e32 v5, 1
	v_cndmask_b32_e64 v1, v1, v18, s8
	v_cmp_lt_f32_e64 s8, v2, v18
	v_cndmask_b32_e64 v2, v2, v18, s8
; %bb.378:
	s_or_b32 exec_lo, exec_lo, s9
	s_or_b32 exec_lo, exec_lo, s10
	s_and_saveexec_b32 s9, s5
	s_cbranch_execz .LBB36_292
.LBB36_379:
	v_and_b32_e32 v5, 1, v5
	v_and_b32_e32 v17, 1, v19
	v_cmp_eq_u32_e64 s5, 1, v5
	v_cmp_eq_u32_e64 s8, 1, v17
                                        ; implicit-def: $vgpr5
	s_and_b32 s8, s5, s8
	s_xor_b32 s8, s8, -1
	s_and_saveexec_b32 s10, s8
	s_xor_b32 s8, exec_lo, s10
	s_cbranch_execz .LBB36_383
; %bb.380:
	v_mov_b32_e32 v5, 1
	s_xor_b32 s10, s5, -1
	s_and_saveexec_b32 s5, s10
; %bb.381:
	v_and_b32_e32 v5, 0xffff, v19
	v_mov_b32_e32 v2, v13
	v_mov_b32_e32 v1, v13
; %bb.382:
	s_or_b32 exec_lo, exec_lo, s5
                                        ; implicit-def: $vgpr13
.LBB36_383:
	s_andn2_saveexec_b32 s8, s8
; %bb.384:
	v_cmp_lt_f32_e64 s5, v13, v1
	v_mov_b32_e32 v5, 1
	v_cndmask_b32_e64 v1, v1, v13, s5
	v_cmp_lt_f32_e64 s5, v2, v13
	v_cndmask_b32_e64 v2, v2, v13, s5
; %bb.385:
	s_or_b32 exec_lo, exec_lo, s8
	s_or_b32 exec_lo, exec_lo, s9
	s_and_saveexec_b32 s8, s4
	s_cbranch_execz .LBB36_293
.LBB36_386:
	v_and_b32_e32 v5, 1, v5
	v_and_b32_e32 v13, 1, v16
	v_cmp_eq_u32_e64 s4, 1, v5
	v_cmp_eq_u32_e64 s5, 1, v13
                                        ; implicit-def: $vgpr5
	s_and_b32 s5, s4, s5
	s_xor_b32 s5, s5, -1
	s_and_saveexec_b32 s9, s5
	s_xor_b32 s5, exec_lo, s9
	s_cbranch_execz .LBB36_390
; %bb.387:
	v_mov_b32_e32 v5, 1
	s_xor_b32 s9, s4, -1
	s_and_saveexec_b32 s4, s9
; %bb.388:
	v_and_b32_e32 v5, 0xffff, v16
	v_mov_b32_e32 v2, v14
	v_mov_b32_e32 v1, v14
; %bb.389:
	s_or_b32 exec_lo, exec_lo, s4
                                        ; implicit-def: $vgpr14
.LBB36_390:
	s_andn2_saveexec_b32 s5, s5
; %bb.391:
	v_cmp_lt_f32_e64 s4, v14, v1
	v_mov_b32_e32 v5, 1
	v_cndmask_b32_e64 v1, v1, v14, s4
	v_cmp_lt_f32_e64 s4, v2, v14
	v_cndmask_b32_e64 v2, v2, v14, s4
; %bb.392:
	s_or_b32 exec_lo, exec_lo, s5
	s_or_b32 exec_lo, exec_lo, s8
	s_and_saveexec_b32 s5, s3
	s_cbranch_execz .LBB36_294
.LBB36_393:
	v_and_b32_e32 v5, 1, v5
	v_and_b32_e32 v13, 1, v15
	v_cmp_eq_u32_e64 s3, 1, v5
	v_cmp_eq_u32_e64 s4, 1, v13
                                        ; implicit-def: $vgpr5
	s_and_b32 s4, s3, s4
	s_xor_b32 s4, s4, -1
	s_and_saveexec_b32 s8, s4
	s_xor_b32 s4, exec_lo, s8
	s_cbranch_execz .LBB36_397
; %bb.394:
	v_mov_b32_e32 v5, 1
	s_xor_b32 s8, s3, -1
	s_and_saveexec_b32 s3, s8
; %bb.395:
	v_and_b32_e32 v5, 0xffff, v15
	v_mov_b32_e32 v2, v10
	v_mov_b32_e32 v1, v10
; %bb.396:
	s_or_b32 exec_lo, exec_lo, s3
                                        ; implicit-def: $vgpr10
.LBB36_397:
	s_andn2_saveexec_b32 s4, s4
; %bb.398:
	v_cmp_lt_f32_e64 s3, v10, v1
	v_mov_b32_e32 v5, 1
	v_cndmask_b32_e64 v1, v1, v10, s3
	v_cmp_lt_f32_e64 s3, v2, v10
	v_cndmask_b32_e64 v2, v2, v10, s3
; %bb.399:
	s_or_b32 exec_lo, exec_lo, s4
	s_or_b32 exec_lo, exec_lo, s5
	s_and_saveexec_b32 s4, s2
	s_cbranch_execz .LBB36_295
.LBB36_400:
	v_and_b32_e32 v5, 1, v5
	v_and_b32_e32 v10, 1, v12
	v_cmp_eq_u32_e64 s2, 1, v5
	v_cmp_eq_u32_e64 s3, 1, v10
                                        ; implicit-def: $vgpr5
	s_and_b32 s3, s2, s3
	s_xor_b32 s3, s3, -1
	s_and_saveexec_b32 s5, s3
	s_xor_b32 s3, exec_lo, s5
	s_cbranch_execz .LBB36_404
; %bb.401:
	v_mov_b32_e32 v5, 1
	s_xor_b32 s5, s2, -1
	s_and_saveexec_b32 s2, s5
; %bb.402:
	v_and_b32_e32 v5, 0xffff, v12
	v_mov_b32_e32 v2, v11
	v_mov_b32_e32 v1, v11
; %bb.403:
	s_or_b32 exec_lo, exec_lo, s2
                                        ; implicit-def: $vgpr11
.LBB36_404:
	s_andn2_saveexec_b32 s3, s3
; %bb.405:
	v_cmp_lt_f32_e64 s2, v11, v1
	v_mov_b32_e32 v5, 1
	v_cndmask_b32_e64 v1, v1, v11, s2
	v_cmp_lt_f32_e64 s2, v2, v11
	v_cndmask_b32_e64 v2, v2, v11, s2
; %bb.406:
	s_or_b32 exec_lo, exec_lo, s3
	s_or_b32 exec_lo, exec_lo, s4
	s_and_saveexec_b32 s3, s1
	s_cbranch_execz .LBB36_296
.LBB36_407:
	v_and_b32_e32 v5, 1, v5
	v_and_b32_e32 v10, 1, v8
	v_cmp_eq_u32_e64 s1, 1, v5
	v_cmp_eq_u32_e64 s2, 1, v10
                                        ; implicit-def: $vgpr5
	s_and_b32 s2, s1, s2
	s_xor_b32 s2, s2, -1
	s_and_saveexec_b32 s4, s2
	s_xor_b32 s2, exec_lo, s4
	s_cbranch_execz .LBB36_411
; %bb.408:
	v_mov_b32_e32 v5, 1
	s_xor_b32 s4, s1, -1
	s_and_saveexec_b32 s1, s4
; %bb.409:
	v_and_b32_e32 v5, 0xffff, v8
	v_mov_b32_e32 v2, v7
	v_mov_b32_e32 v1, v7
; %bb.410:
	s_or_b32 exec_lo, exec_lo, s1
                                        ; implicit-def: $vgpr7
.LBB36_411:
	s_andn2_saveexec_b32 s2, s2
; %bb.412:
	v_cmp_lt_f32_e64 s1, v7, v1
	v_mov_b32_e32 v5, 1
	v_cndmask_b32_e64 v1, v1, v7, s1
	v_cmp_lt_f32_e64 s1, v2, v7
	v_cndmask_b32_e64 v2, v2, v7, s1
; %bb.413:
	s_or_b32 exec_lo, exec_lo, s2
	s_or_b32 exec_lo, exec_lo, s3
	s_and_saveexec_b32 s2, s0
	s_cbranch_execz .LBB36_297
.LBB36_414:
	v_and_b32_e32 v5, 1, v5
	v_and_b32_e32 v7, 1, v9
	v_cmp_eq_u32_e64 s0, 1, v5
	v_cmp_eq_u32_e64 s1, 1, v7
                                        ; implicit-def: $vgpr5
	s_and_b32 s1, s0, s1
	s_xor_b32 s1, s1, -1
	s_and_saveexec_b32 s3, s1
	s_xor_b32 s1, exec_lo, s3
	s_cbranch_execz .LBB36_418
; %bb.415:
	v_mov_b32_e32 v5, 1
	s_xor_b32 s3, s0, -1
	s_and_saveexec_b32 s0, s3
; %bb.416:
	v_and_b32_e32 v5, 0xffff, v9
	v_mov_b32_e32 v2, v6
	v_mov_b32_e32 v1, v6
; %bb.417:
	s_or_b32 exec_lo, exec_lo, s0
                                        ; implicit-def: $vgpr6
.LBB36_418:
	s_andn2_saveexec_b32 s1, s1
; %bb.419:
	v_cmp_lt_f32_e64 s0, v6, v1
	v_mov_b32_e32 v5, 1
	v_cndmask_b32_e64 v1, v1, v6, s0
	v_cmp_lt_f32_e64 s0, v2, v6
	v_cndmask_b32_e64 v2, v2, v6, s0
; %bb.420:
	s_or_b32 exec_lo, exec_lo, s1
	s_or_b32 exec_lo, exec_lo, s2
	s_and_saveexec_b32 s1, vcc_lo
	s_cbranch_execz .LBB36_428
.LBB36_421:
	v_and_b32_e32 v5, 1, v5
	v_and_b32_e32 v6, 1, v4
	v_cmp_eq_u32_e32 vcc_lo, 1, v5
	v_cmp_eq_u32_e64 s0, 1, v6
                                        ; implicit-def: $vgpr5
	s_and_b32 s0, vcc_lo, s0
	s_xor_b32 s0, s0, -1
	s_and_saveexec_b32 s2, s0
	s_xor_b32 s0, exec_lo, s2
	s_cbranch_execz .LBB36_425
; %bb.422:
	v_mov_b32_e32 v5, 1
	s_xor_b32 s3, vcc_lo, -1
	s_and_saveexec_b32 s2, s3
	s_cbranch_execz .LBB36_424
; %bb.423:
	v_and_b32_e32 v5, 0xffff, v4
	s_waitcnt vmcnt(0)
	v_mov_b32_e32 v2, v3
	v_mov_b32_e32 v1, v3
.LBB36_424:
	s_or_b32 exec_lo, exec_lo, s2
                                        ; implicit-def: $vgpr3
.LBB36_425:
	s_andn2_saveexec_b32 s0, s0
	s_cbranch_execz .LBB36_427
; %bb.426:
	s_waitcnt vmcnt(0)
	v_cmp_lt_f32_e32 vcc_lo, v3, v1
	v_mov_b32_e32 v5, 1
	v_cndmask_b32_e32 v1, v1, v3, vcc_lo
	v_cmp_lt_f32_e32 vcc_lo, v2, v3
	v_cndmask_b32_e32 v2, v2, v3, vcc_lo
.LBB36_427:
	s_or_b32 exec_lo, exec_lo, s0
.LBB36_428:
	s_or_b32 exec_lo, exec_lo, s1
	s_waitcnt vmcnt(0)
	v_mbcnt_lo_u32_b32 v3, -1, 0
	s_min_u32 s0, s34, 0x100
	s_mov_b32 s1, exec_lo
	v_cmp_ne_u32_e32 vcc_lo, 31, v3
	v_add_nc_u32_e32 v9, 1, v3
	v_add_co_ci_u32_e64 v4, null, 0, v3, vcc_lo
	v_lshlrev_b32_e32 v4, 2, v4
	ds_bpermute_b32 v8, v4, v5
	ds_bpermute_b32 v6, v4, v1
	;; [unrolled: 1-line block ×3, first 2 shown]
	v_and_b32_e32 v4, 0xe0, v0
	v_sub_nc_u32_e64 v4, s0, v4 clamp
	v_cmpx_lt_u32_e64 v9, v4
	s_xor_b32 s1, exec_lo, s1
	s_cbranch_execz .LBB36_436
; %bb.429:
	s_waitcnt lgkmcnt(2)
	v_and_b32_e32 v9, v8, v5
	s_mov_b32 s2, exec_lo
	v_cmpx_ne_u32_e32 0, v9
	s_xor_b32 s2, exec_lo, s2
	s_cbranch_execz .LBB36_431
; %bb.430:
	s_waitcnt lgkmcnt(1)
	v_cmp_gt_f32_e32 vcc_lo, v1, v6
                                        ; implicit-def: $vgpr8
                                        ; implicit-def: $vgpr5
	v_cndmask_b32_e32 v6, v1, v6, vcc_lo
	s_waitcnt lgkmcnt(0)
	v_cmp_lt_f32_e32 vcc_lo, v2, v7
	v_cndmask_b32_e32 v7, v2, v7, vcc_lo
                                        ; implicit-def: $vgpr2
.LBB36_431:
	s_or_saveexec_b32 s2, s2
	v_mov_b32_e32 v9, 1
	s_xor_b32 exec_lo, exec_lo, s2
	s_cbranch_execz .LBB36_435
; %bb.432:
	v_and_b32_e32 v5, 1, v5
	s_mov_b32 s3, exec_lo
	v_cmpx_eq_u32_e32 1, v5
	s_cbranch_execz .LBB36_434
; %bb.433:
	v_mov_b32_e32 v8, 1
	s_waitcnt lgkmcnt(0)
	v_mov_b32_e32 v7, v2
	v_mov_b32_e32 v6, v1
.LBB36_434:
	s_or_b32 exec_lo, exec_lo, s3
	v_mov_b32_e32 v9, v8
.LBB36_435:
	s_or_b32 exec_lo, exec_lo, s2
	v_and_b32_e32 v5, 0xff, v9
	s_waitcnt lgkmcnt(1)
	v_mov_b32_e32 v1, v6
	s_waitcnt lgkmcnt(0)
	v_mov_b32_e32 v2, v7
.LBB36_436:
	s_or_b32 exec_lo, exec_lo, s1
	v_cmp_gt_u32_e32 vcc_lo, 30, v3
	v_add_nc_u32_e32 v9, 2, v3
	s_mov_b32 s1, exec_lo
	s_waitcnt lgkmcnt(1)
	v_cndmask_b32_e64 v6, 0, 2, vcc_lo
	v_add_lshl_u32 v6, v6, v3, 2
	ds_bpermute_b32 v8, v6, v5
	s_waitcnt lgkmcnt(1)
	ds_bpermute_b32 v7, v6, v1
	ds_bpermute_b32 v6, v6, v2
	v_cmpx_lt_u32_e64 v9, v4
	s_cbranch_execz .LBB36_444
; %bb.437:
	s_waitcnt lgkmcnt(2)
	v_and_b32_e32 v9, v5, v8
	s_mov_b32 s2, exec_lo
	v_and_b32_e32 v9, 1, v9
	v_cmpx_eq_u32_e32 1, v9
	s_xor_b32 s2, exec_lo, s2
	s_cbranch_execz .LBB36_439
; %bb.438:
	s_waitcnt lgkmcnt(1)
	v_cmp_gt_f32_e32 vcc_lo, v1, v7
                                        ; implicit-def: $vgpr8
                                        ; implicit-def: $vgpr5
	v_cndmask_b32_e32 v7, v1, v7, vcc_lo
	s_waitcnt lgkmcnt(0)
	v_cmp_lt_f32_e32 vcc_lo, v2, v6
	v_cndmask_b32_e32 v6, v2, v6, vcc_lo
                                        ; implicit-def: $vgpr2
.LBB36_439:
	s_or_saveexec_b32 s2, s2
	v_mov_b32_e32 v9, 1
	s_xor_b32 exec_lo, exec_lo, s2
	s_cbranch_execz .LBB36_443
; %bb.440:
	v_and_b32_e32 v5, 1, v5
	s_mov_b32 s3, exec_lo
	v_cmpx_eq_u32_e32 1, v5
	s_cbranch_execz .LBB36_442
; %bb.441:
	v_mov_b32_e32 v8, 1
	s_waitcnt lgkmcnt(0)
	v_mov_b32_e32 v6, v2
	v_mov_b32_e32 v7, v1
.LBB36_442:
	s_or_b32 exec_lo, exec_lo, s3
	v_mov_b32_e32 v9, v8
.LBB36_443:
	s_or_b32 exec_lo, exec_lo, s2
	v_and_b32_e32 v5, 0xff, v9
	s_waitcnt lgkmcnt(1)
	v_mov_b32_e32 v1, v7
	s_waitcnt lgkmcnt(0)
	v_mov_b32_e32 v2, v6
.LBB36_444:
	s_or_b32 exec_lo, exec_lo, s1
	v_cmp_gt_u32_e32 vcc_lo, 28, v3
	v_add_nc_u32_e32 v9, 4, v3
	s_mov_b32 s1, exec_lo
	s_waitcnt lgkmcnt(0)
	v_cndmask_b32_e64 v6, 0, 4, vcc_lo
	v_add_lshl_u32 v6, v6, v3, 2
	ds_bpermute_b32 v8, v6, v5
	ds_bpermute_b32 v7, v6, v1
	;; [unrolled: 1-line block ×3, first 2 shown]
	v_cmpx_lt_u32_e64 v9, v4
	s_cbranch_execz .LBB36_452
; %bb.445:
	s_waitcnt lgkmcnt(2)
	v_and_b32_e32 v9, v5, v8
	s_mov_b32 s2, exec_lo
	v_and_b32_e32 v9, 1, v9
	v_cmpx_eq_u32_e32 1, v9
	s_xor_b32 s2, exec_lo, s2
	s_cbranch_execz .LBB36_447
; %bb.446:
	s_waitcnt lgkmcnt(1)
	v_cmp_gt_f32_e32 vcc_lo, v1, v7
                                        ; implicit-def: $vgpr8
                                        ; implicit-def: $vgpr5
	v_cndmask_b32_e32 v7, v1, v7, vcc_lo
	s_waitcnt lgkmcnt(0)
	v_cmp_lt_f32_e32 vcc_lo, v2, v6
	v_cndmask_b32_e32 v6, v2, v6, vcc_lo
                                        ; implicit-def: $vgpr2
.LBB36_447:
	s_or_saveexec_b32 s2, s2
	v_mov_b32_e32 v9, 1
	s_xor_b32 exec_lo, exec_lo, s2
	s_cbranch_execz .LBB36_451
; %bb.448:
	v_and_b32_e32 v5, 1, v5
	s_mov_b32 s3, exec_lo
	v_cmpx_eq_u32_e32 1, v5
	s_cbranch_execz .LBB36_450
; %bb.449:
	v_mov_b32_e32 v8, 1
	s_waitcnt lgkmcnt(0)
	v_mov_b32_e32 v6, v2
	v_mov_b32_e32 v7, v1
.LBB36_450:
	s_or_b32 exec_lo, exec_lo, s3
	v_mov_b32_e32 v9, v8
.LBB36_451:
	s_or_b32 exec_lo, exec_lo, s2
	v_and_b32_e32 v5, 0xff, v9
	s_waitcnt lgkmcnt(1)
	v_mov_b32_e32 v1, v7
	s_waitcnt lgkmcnt(0)
	v_mov_b32_e32 v2, v6
.LBB36_452:
	s_or_b32 exec_lo, exec_lo, s1
	v_cmp_gt_u32_e32 vcc_lo, 24, v3
	v_add_nc_u32_e32 v9, 8, v3
	s_mov_b32 s1, exec_lo
	s_waitcnt lgkmcnt(0)
	v_cndmask_b32_e64 v6, 0, 8, vcc_lo
	v_add_lshl_u32 v6, v6, v3, 2
	ds_bpermute_b32 v8, v6, v5
	ds_bpermute_b32 v7, v6, v1
	;; [unrolled: 1-line block ×3, first 2 shown]
	v_cmpx_lt_u32_e64 v9, v4
	s_cbranch_execz .LBB36_460
; %bb.453:
	s_waitcnt lgkmcnt(2)
	v_and_b32_e32 v9, v5, v8
	s_mov_b32 s2, exec_lo
	v_and_b32_e32 v9, 1, v9
	v_cmpx_eq_u32_e32 1, v9
	s_xor_b32 s2, exec_lo, s2
	s_cbranch_execz .LBB36_455
; %bb.454:
	s_waitcnt lgkmcnt(1)
	v_cmp_gt_f32_e32 vcc_lo, v1, v7
                                        ; implicit-def: $vgpr8
                                        ; implicit-def: $vgpr5
	v_cndmask_b32_e32 v7, v1, v7, vcc_lo
	s_waitcnt lgkmcnt(0)
	v_cmp_lt_f32_e32 vcc_lo, v2, v6
	v_cndmask_b32_e32 v6, v2, v6, vcc_lo
                                        ; implicit-def: $vgpr2
.LBB36_455:
	s_or_saveexec_b32 s2, s2
	v_mov_b32_e32 v9, 1
	s_xor_b32 exec_lo, exec_lo, s2
	s_cbranch_execz .LBB36_459
; %bb.456:
	v_and_b32_e32 v5, 1, v5
	s_mov_b32 s3, exec_lo
	v_cmpx_eq_u32_e32 1, v5
	s_cbranch_execz .LBB36_458
; %bb.457:
	v_mov_b32_e32 v8, 1
	s_waitcnt lgkmcnt(0)
	v_mov_b32_e32 v6, v2
	v_mov_b32_e32 v7, v1
.LBB36_458:
	s_or_b32 exec_lo, exec_lo, s3
	v_mov_b32_e32 v9, v8
.LBB36_459:
	s_or_b32 exec_lo, exec_lo, s2
	v_and_b32_e32 v5, 0xff, v9
	s_waitcnt lgkmcnt(1)
	v_mov_b32_e32 v1, v7
	s_waitcnt lgkmcnt(0)
	v_mov_b32_e32 v2, v6
.LBB36_460:
	s_or_b32 exec_lo, exec_lo, s1
	s_waitcnt lgkmcnt(0)
	v_lshlrev_b32_e32 v6, 2, v3
	v_add_nc_u32_e32 v10, 16, v3
	v_or_b32_e32 v8, 64, v6
	v_cmp_lt_u32_e32 vcc_lo, v10, v4
	v_mov_b32_e32 v4, v5
	ds_bpermute_b32 v9, v8, v5
	ds_bpermute_b32 v7, v8, v1
	;; [unrolled: 1-line block ×3, first 2 shown]
	s_and_saveexec_b32 s1, vcc_lo
	s_cbranch_execz .LBB36_468
; %bb.461:
	s_waitcnt lgkmcnt(2)
	v_and_b32_e32 v4, v5, v9
	s_mov_b32 s2, exec_lo
	v_and_b32_e32 v4, 1, v4
	v_cmpx_eq_u32_e32 1, v4
	s_xor_b32 s2, exec_lo, s2
	s_cbranch_execz .LBB36_463
; %bb.462:
	s_waitcnt lgkmcnt(1)
	v_cmp_gt_f32_e32 vcc_lo, v1, v7
                                        ; implicit-def: $vgpr9
                                        ; implicit-def: $vgpr5
	v_cndmask_b32_e32 v7, v1, v7, vcc_lo
	s_waitcnt lgkmcnt(0)
	v_cmp_lt_f32_e32 vcc_lo, v2, v8
	v_cndmask_b32_e32 v8, v2, v8, vcc_lo
                                        ; implicit-def: $vgpr2
.LBB36_463:
	s_or_saveexec_b32 s2, s2
	v_mov_b32_e32 v4, 1
	s_xor_b32 exec_lo, exec_lo, s2
	s_cbranch_execz .LBB36_467
; %bb.464:
	v_and_b32_e32 v4, 1, v5
	s_mov_b32 s3, exec_lo
	v_cmpx_eq_u32_e32 1, v4
	s_cbranch_execz .LBB36_466
; %bb.465:
	v_mov_b32_e32 v9, 1
	s_waitcnt lgkmcnt(0)
	v_mov_b32_e32 v8, v2
	v_mov_b32_e32 v7, v1
.LBB36_466:
	s_or_b32 exec_lo, exec_lo, s3
	v_mov_b32_e32 v4, v9
.LBB36_467:
	s_or_b32 exec_lo, exec_lo, s2
	v_and_b32_e32 v5, 0xff, v4
	s_waitcnt lgkmcnt(0)
	v_mov_b32_e32 v2, v8
	v_mov_b32_e32 v1, v7
.LBB36_468:
	s_or_b32 exec_lo, exec_lo, s1
	s_mov_b32 s1, exec_lo
	v_cmpx_eq_u32_e32 0, v3
	s_cbranch_execz .LBB36_470
; %bb.469:
	s_waitcnt lgkmcnt(1)
	v_lshrrev_b32_e32 v7, 5, v0
	v_mul_u32_u24_e32 v7, 12, v7
	ds_write_b8 v7, v4
	ds_write2_b32 v7, v1, v2 offset0:1 offset1:2
.LBB36_470:
	s_or_b32 exec_lo, exec_lo, s1
	s_mov_b32 s1, exec_lo
	s_waitcnt lgkmcnt(0)
	s_barrier
	buffer_gl0_inv
	v_cmpx_gt_u32_e32 8, v0
	s_cbranch_execz .LBB36_496
; %bb.471:
	v_mul_u32_u24_e32 v1, 12, v3
	v_and_b32_e32 v4, 7, v3
	s_add_i32 s0, s0, 31
	ds_read_u8 v10, v1
	ds_read2_b32 v[1:2], v1 offset0:1 offset1:2
	v_cmp_ne_u32_e32 vcc_lo, 7, v4
	v_add_nc_u32_e32 v11, 1, v4
	s_lshr_b32 s0, s0, 5
	v_add_co_ci_u32_e64 v5, null, 0, v3, vcc_lo
	v_cmp_gt_u32_e32 vcc_lo, s0, v11
	v_lshlrev_b32_e32 v8, 2, v5
	s_waitcnt lgkmcnt(1)
	v_and_b32_e32 v5, 0xff, v10
	s_waitcnt lgkmcnt(0)
	ds_bpermute_b32 v7, v8, v1
	v_mov_b32_e32 v11, v1
	v_mov_b32_e32 v12, v2
	ds_bpermute_b32 v9, v8, v5
	ds_bpermute_b32 v8, v8, v2
	s_and_saveexec_b32 s2, vcc_lo
	s_cbranch_execz .LBB36_479
; %bb.472:
	s_waitcnt lgkmcnt(1)
	v_and_b32_e32 v5, v5, v9
	s_mov_b32 s3, exec_lo
	v_and_b32_e32 v5, 1, v5
	v_cmpx_eq_u32_e32 1, v5
	s_xor_b32 s3, exec_lo, s3
	s_cbranch_execz .LBB36_474
; %bb.473:
	v_cmp_gt_f32_e32 vcc_lo, v1, v7
                                        ; implicit-def: $vgpr9
                                        ; implicit-def: $vgpr10
	v_cndmask_b32_e32 v7, v1, v7, vcc_lo
	s_waitcnt lgkmcnt(0)
	v_cmp_lt_f32_e32 vcc_lo, v2, v8
	v_cndmask_b32_e32 v8, v2, v8, vcc_lo
                                        ; implicit-def: $vgpr2
.LBB36_474:
	s_or_saveexec_b32 s3, s3
	v_mov_b32_e32 v5, 1
	s_xor_b32 exec_lo, exec_lo, s3
	s_cbranch_execz .LBB36_478
; %bb.475:
	v_and_b32_e32 v5, 1, v10
	s_mov_b32 s4, exec_lo
	v_cmpx_eq_u32_e32 1, v5
	s_cbranch_execz .LBB36_477
; %bb.476:
	v_mov_b32_e32 v9, 1
	s_waitcnt lgkmcnt(0)
	v_mov_b32_e32 v8, v2
	v_mov_b32_e32 v7, v1
.LBB36_477:
	s_or_b32 exec_lo, exec_lo, s4
	v_mov_b32_e32 v5, v9
.LBB36_478:
	s_or_b32 exec_lo, exec_lo, s3
	v_and_b32_e32 v5, 0xff, v5
	v_mov_b32_e32 v11, v7
	s_waitcnt lgkmcnt(0)
	v_mov_b32_e32 v12, v8
	v_mov_b32_e32 v2, v8
	;; [unrolled: 1-line block ×3, first 2 shown]
.LBB36_479:
	s_or_b32 exec_lo, exec_lo, s2
	v_cmp_gt_u32_e32 vcc_lo, 6, v4
	s_waitcnt lgkmcnt(1)
	v_add_nc_u32_e32 v9, 2, v4
	s_mov_b32 s2, exec_lo
	v_cndmask_b32_e64 v7, 0, 2, vcc_lo
	v_add_lshl_u32 v7, v7, v3, 2
	s_waitcnt lgkmcnt(0)
	ds_bpermute_b32 v8, v7, v5
	ds_bpermute_b32 v3, v7, v11
	;; [unrolled: 1-line block ×3, first 2 shown]
	v_cmpx_gt_u32_e64 s0, v9
	s_cbranch_execz .LBB36_487
; %bb.480:
	s_waitcnt lgkmcnt(2)
	v_and_b32_e32 v9, v5, v8
	s_mov_b32 s3, exec_lo
	v_and_b32_e32 v9, 1, v9
	v_cmpx_eq_u32_e32 1, v9
	s_xor_b32 s3, exec_lo, s3
	s_cbranch_execz .LBB36_482
; %bb.481:
	s_waitcnt lgkmcnt(1)
	v_cmp_gt_f32_e32 vcc_lo, v1, v3
                                        ; implicit-def: $vgpr8
                                        ; implicit-def: $vgpr5
	v_cndmask_b32_e32 v3, v1, v3, vcc_lo
	s_waitcnt lgkmcnt(0)
	v_cmp_lt_f32_e32 vcc_lo, v2, v7
	v_cndmask_b32_e32 v7, v2, v7, vcc_lo
                                        ; implicit-def: $vgpr2
.LBB36_482:
	s_or_saveexec_b32 s3, s3
	v_mov_b32_e32 v9, 1
	s_xor_b32 exec_lo, exec_lo, s3
	s_cbranch_execz .LBB36_486
; %bb.483:
	v_and_b32_e32 v5, 1, v5
	s_mov_b32 s4, exec_lo
	v_cmpx_eq_u32_e32 1, v5
	s_cbranch_execz .LBB36_485
; %bb.484:
	v_mov_b32_e32 v8, 1
	s_waitcnt lgkmcnt(0)
	v_mov_b32_e32 v7, v2
	v_mov_b32_e32 v3, v1
.LBB36_485:
	s_or_b32 exec_lo, exec_lo, s4
	v_mov_b32_e32 v9, v8
.LBB36_486:
	s_or_b32 exec_lo, exec_lo, s3
	v_and_b32_e32 v5, 0xff, v9
	s_waitcnt lgkmcnt(1)
	v_mov_b32_e32 v11, v3
	s_waitcnt lgkmcnt(0)
	v_mov_b32_e32 v12, v7
	v_mov_b32_e32 v2, v7
	;; [unrolled: 1-line block ×3, first 2 shown]
.LBB36_487:
	s_or_b32 exec_lo, exec_lo, s2
	v_or_b32_e32 v6, 16, v6
	v_add_nc_u32_e32 v4, 4, v4
	s_waitcnt lgkmcnt(0)
	ds_bpermute_b32 v7, v6, v5
	ds_bpermute_b32 v3, v6, v11
	ds_bpermute_b32 v6, v6, v12
	v_cmp_gt_u32_e32 vcc_lo, s0, v4
	s_and_saveexec_b32 s0, vcc_lo
	s_cbranch_execz .LBB36_495
; %bb.488:
	s_waitcnt lgkmcnt(2)
	v_and_b32_e32 v4, v5, v7
	s_mov_b32 s2, exec_lo
	v_and_b32_e32 v4, 1, v4
	v_cmpx_eq_u32_e32 1, v4
	s_xor_b32 s2, exec_lo, s2
	s_cbranch_execz .LBB36_490
; %bb.489:
	s_waitcnt lgkmcnt(1)
	v_cmp_gt_f32_e32 vcc_lo, v1, v3
                                        ; implicit-def: $vgpr7
                                        ; implicit-def: $vgpr5
	v_cndmask_b32_e32 v3, v1, v3, vcc_lo
	s_waitcnt lgkmcnt(0)
	v_cmp_lt_f32_e32 vcc_lo, v2, v6
	v_cndmask_b32_e32 v6, v2, v6, vcc_lo
                                        ; implicit-def: $vgpr2
.LBB36_490:
	s_or_saveexec_b32 s2, s2
	v_mov_b32_e32 v4, 1
	s_xor_b32 exec_lo, exec_lo, s2
	s_cbranch_execz .LBB36_494
; %bb.491:
	v_and_b32_e32 v4, 1, v5
	s_mov_b32 s3, exec_lo
	v_cmpx_eq_u32_e32 1, v4
	s_cbranch_execz .LBB36_493
; %bb.492:
	v_mov_b32_e32 v7, 1
	s_waitcnt lgkmcnt(0)
	v_mov_b32_e32 v6, v2
	v_mov_b32_e32 v3, v1
.LBB36_493:
	s_or_b32 exec_lo, exec_lo, s3
	v_mov_b32_e32 v4, v7
.LBB36_494:
	s_or_b32 exec_lo, exec_lo, s2
	s_waitcnt lgkmcnt(0)
	v_mov_b32_e32 v2, v6
	v_mov_b32_e32 v1, v3
	;; [unrolled: 1-line block ×3, first 2 shown]
.LBB36_495:
	s_or_b32 exec_lo, exec_lo, s0
.LBB36_496:
	s_or_b32 exec_lo, exec_lo, s1
.LBB36_497:
	s_mov_b32 s10, 0
	s_mov_b32 s0, exec_lo
                                        ; implicit-def: $vgpr4
                                        ; implicit-def: $vgpr6
	v_cmpx_eq_u32_e32 0, v0
	s_xor_b32 s0, exec_lo, s0
	s_cbranch_execz .LBB36_505
; %bb.498:
	v_mov_b32_e32 v4, s19
	s_waitcnt lgkmcnt(1)
	v_mov_b32_e32 v3, s18
	s_waitcnt lgkmcnt(0)
	v_mov_b32_e32 v6, s30
	s_cmp_eq_u64 s[24:25], 0
	s_cbranch_scc1 .LBB36_504
; %bb.499:
	v_and_b32_e32 v3, 1, v5
	s_bitcmp1_b32 s30, 0
                                        ; implicit-def: $vgpr6
	s_cselect_b32 s1, -1, 0
	v_cmp_eq_u32_e32 vcc_lo, 1, v3
                                        ; implicit-def: $vgpr4
	s_and_b32 s2, s1, vcc_lo
	s_xor_b32 s2, s2, -1
	s_and_saveexec_b32 s3, s2
	s_xor_b32 s2, exec_lo, s3
; %bb.500:
	v_cndmask_b32_e64 v6, v5, 1, s1
	v_cndmask_b32_e64 v3, v1, s18, s1
	;; [unrolled: 1-line block ×3, first 2 shown]
                                        ; implicit-def: $vgpr1
; %bb.501:
	s_andn2_saveexec_b32 s1, s2
; %bb.502:
	v_cmp_gt_f32_e32 vcc_lo, s18, v1
	v_mov_b32_e32 v6, 1
	v_cndmask_b32_e32 v3, s18, v1, vcc_lo
	v_cmp_lt_f32_e32 vcc_lo, s19, v2
	v_cndmask_b32_e32 v4, s19, v2, vcc_lo
; %bb.503:
	s_or_b32 exec_lo, exec_lo, s1
.LBB36_504:
	s_mov_b32 s10, exec_lo
.LBB36_505:
	s_or_b32 exec_lo, exec_lo, s0
	s_and_b32 vcc_lo, exec_lo, s31
	s_cbranch_vccnz .LBB36_152
.LBB36_506:
	s_branch .LBB36_709
.LBB36_507:
	v_lshlrev_b32_e32 v3, 2, v2
	v_add_nc_u32_e32 v2, s11, v2
	global_load_dword v3, v3, s[8:9]
	s_abs_i32 s9, s23
	v_sub_nc_u32_e32 v19, 0, v2
	v_cvt_f32_u32_e32 v4, s9
	s_sub_i32 s8, 0, s9
	v_max_i32_e32 v19, v2, v19
	v_rcp_iflag_f32_e32 v4, v4
	v_ashrrev_i32_e32 v2, 31, v2
	v_mul_f32_e32 v4, 0x4f7ffffe, v4
	v_cvt_u32_f32_e32 v4, v4
	v_mul_lo_u32 v18, s8, v4
	v_mul_hi_u32 v18, v4, v18
	v_add_nc_u32_e32 v4, v4, v18
	v_mul_hi_u32 v4, v19, v4
	v_mul_lo_u32 v4, v4, s9
	v_sub_nc_u32_e32 v4, v19, v4
	v_subrev_nc_u32_e32 v18, s9, v4
	v_cmp_le_u32_e64 s8, s9, v4
	v_cndmask_b32_e64 v4, v4, v18, s8
	v_subrev_nc_u32_e32 v18, s9, v4
	v_cmp_le_u32_e64 s8, s9, v4
	v_cndmask_b32_e64 v4, v4, v18, s8
	v_xor_b32_e32 v4, v4, v2
	v_sub_nc_u32_e32 v2, v4, v2
	v_cmp_gt_i32_e64 s8, s22, v2
	v_cndmask_b32_e64 v4, 0, 1, s8
	s_or_b32 exec_lo, exec_lo, s13
	s_waitcnt vmcnt(1)
	v_mov_b32_e32 v2, v1
	s_and_saveexec_b32 s9, s5
	s_cbranch_execz .LBB36_316
.LBB36_508:
	v_and_b32_e32 v2, 1, v5
	v_and_b32_e32 v5, 1, v17
	v_cmp_eq_u32_e64 s5, 1, v2
	v_cmp_eq_u32_e64 s8, 1, v5
                                        ; implicit-def: $vgpr5
	s_and_b32 s8, s5, s8
	s_xor_b32 s8, s8, -1
	s_and_saveexec_b32 s11, s8
	s_xor_b32 s8, exec_lo, s11
	s_cbranch_execz .LBB36_512
; %bb.509:
	v_mov_b32_e32 v5, 1
	s_xor_b32 s11, s5, -1
	s_and_saveexec_b32 s5, s11
; %bb.510:
	v_and_b32_e32 v5, 0xffff, v17
	v_mov_b32_e32 v1, v13
; %bb.511:
	s_or_b32 exec_lo, exec_lo, s5
                                        ; implicit-def: $vgpr13
.LBB36_512:
	s_or_saveexec_b32 s8, s8
	v_mov_b32_e32 v17, v1
	s_xor_b32 exec_lo, exec_lo, s8
; %bb.513:
	v_cmp_lt_f32_e64 s5, v13, v1
	v_mov_b32_e32 v5, 1
	v_cndmask_b32_e64 v17, v1, v13, s5
	v_cmp_lt_f32_e64 s5, v1, v13
	v_cndmask_b32_e64 v1, v1, v13, s5
; %bb.514:
	s_or_b32 exec_lo, exec_lo, s8
	v_mov_b32_e32 v2, v1
	v_mov_b32_e32 v1, v17
	s_or_b32 exec_lo, exec_lo, s9
	s_and_saveexec_b32 s8, s4
	s_cbranch_execz .LBB36_317
.LBB36_515:
	v_and_b32_e32 v5, 1, v5
	v_and_b32_e32 v13, 1, v16
	v_cmp_eq_u32_e64 s4, 1, v5
	v_cmp_eq_u32_e64 s5, 1, v13
                                        ; implicit-def: $vgpr5
	s_and_b32 s5, s4, s5
	s_xor_b32 s5, s5, -1
	s_and_saveexec_b32 s9, s5
	s_xor_b32 s5, exec_lo, s9
	s_cbranch_execz .LBB36_519
; %bb.516:
	v_mov_b32_e32 v5, 1
	s_xor_b32 s9, s4, -1
	s_and_saveexec_b32 s4, s9
; %bb.517:
	v_and_b32_e32 v5, 0xffff, v16
	v_mov_b32_e32 v2, v14
	v_mov_b32_e32 v1, v14
; %bb.518:
	s_or_b32 exec_lo, exec_lo, s4
                                        ; implicit-def: $vgpr14
.LBB36_519:
	s_andn2_saveexec_b32 s5, s5
; %bb.520:
	v_cmp_lt_f32_e64 s4, v14, v1
	v_mov_b32_e32 v5, 1
	v_cndmask_b32_e64 v1, v1, v14, s4
	v_cmp_lt_f32_e64 s4, v2, v14
	v_cndmask_b32_e64 v2, v2, v14, s4
; %bb.521:
	s_or_b32 exec_lo, exec_lo, s5
	s_or_b32 exec_lo, exec_lo, s8
	s_and_saveexec_b32 s5, s3
	s_cbranch_execz .LBB36_318
.LBB36_522:
	v_and_b32_e32 v5, 1, v5
	v_and_b32_e32 v13, 1, v15
	v_cmp_eq_u32_e64 s3, 1, v5
	v_cmp_eq_u32_e64 s4, 1, v13
                                        ; implicit-def: $vgpr5
	s_and_b32 s4, s3, s4
	s_xor_b32 s4, s4, -1
	s_and_saveexec_b32 s8, s4
	s_xor_b32 s4, exec_lo, s8
	s_cbranch_execz .LBB36_526
; %bb.523:
	v_mov_b32_e32 v5, 1
	s_xor_b32 s8, s3, -1
	s_and_saveexec_b32 s3, s8
; %bb.524:
	v_and_b32_e32 v5, 0xffff, v15
	v_mov_b32_e32 v2, v9
	v_mov_b32_e32 v1, v9
; %bb.525:
	s_or_b32 exec_lo, exec_lo, s3
                                        ; implicit-def: $vgpr9
.LBB36_526:
	s_andn2_saveexec_b32 s4, s4
; %bb.527:
	v_cmp_lt_f32_e64 s3, v9, v1
	v_mov_b32_e32 v5, 1
	v_cndmask_b32_e64 v1, v1, v9, s3
	v_cmp_lt_f32_e64 s3, v2, v9
	v_cndmask_b32_e64 v2, v2, v9, s3
; %bb.528:
	s_or_b32 exec_lo, exec_lo, s4
	s_or_b32 exec_lo, exec_lo, s5
	s_and_saveexec_b32 s4, s2
	s_cbranch_execz .LBB36_319
.LBB36_529:
	v_and_b32_e32 v5, 1, v5
	v_and_b32_e32 v9, 1, v12
	v_cmp_eq_u32_e64 s2, 1, v5
	v_cmp_eq_u32_e64 s3, 1, v9
                                        ; implicit-def: $vgpr5
	s_and_b32 s3, s2, s3
	s_xor_b32 s3, s3, -1
	s_and_saveexec_b32 s5, s3
	s_xor_b32 s3, exec_lo, s5
	s_cbranch_execz .LBB36_533
; %bb.530:
	v_mov_b32_e32 v5, 1
	s_xor_b32 s5, s2, -1
	s_and_saveexec_b32 s2, s5
; %bb.531:
	v_and_b32_e32 v5, 0xffff, v12
	v_mov_b32_e32 v2, v10
	v_mov_b32_e32 v1, v10
; %bb.532:
	s_or_b32 exec_lo, exec_lo, s2
                                        ; implicit-def: $vgpr10
.LBB36_533:
	s_andn2_saveexec_b32 s3, s3
; %bb.534:
	v_cmp_lt_f32_e64 s2, v10, v1
	v_mov_b32_e32 v5, 1
	v_cndmask_b32_e64 v1, v1, v10, s2
	v_cmp_lt_f32_e64 s2, v2, v10
	v_cndmask_b32_e64 v2, v2, v10, s2
; %bb.535:
	s_or_b32 exec_lo, exec_lo, s3
	s_or_b32 exec_lo, exec_lo, s4
	s_and_saveexec_b32 s3, s1
	s_cbranch_execz .LBB36_320
.LBB36_536:
	v_and_b32_e32 v5, 1, v5
	v_and_b32_e32 v9, 1, v11
	v_cmp_eq_u32_e64 s1, 1, v5
	v_cmp_eq_u32_e64 s2, 1, v9
                                        ; implicit-def: $vgpr5
	s_and_b32 s2, s1, s2
	s_xor_b32 s2, s2, -1
	s_and_saveexec_b32 s4, s2
	s_xor_b32 s2, exec_lo, s4
	s_cbranch_execz .LBB36_540
; %bb.537:
	v_mov_b32_e32 v5, 1
	s_xor_b32 s4, s1, -1
	s_and_saveexec_b32 s1, s4
; %bb.538:
	v_and_b32_e32 v5, 0xffff, v11
	v_mov_b32_e32 v2, v6
	v_mov_b32_e32 v1, v6
; %bb.539:
	s_or_b32 exec_lo, exec_lo, s1
                                        ; implicit-def: $vgpr6
.LBB36_540:
	s_andn2_saveexec_b32 s2, s2
; %bb.541:
	v_cmp_lt_f32_e64 s1, v6, v1
	v_mov_b32_e32 v5, 1
	v_cndmask_b32_e64 v1, v1, v6, s1
	v_cmp_lt_f32_e64 s1, v2, v6
	v_cndmask_b32_e64 v2, v2, v6, s1
; %bb.542:
	s_or_b32 exec_lo, exec_lo, s2
	s_or_b32 exec_lo, exec_lo, s3
	s_and_saveexec_b32 s2, s0
	s_cbranch_execz .LBB36_321
.LBB36_543:
	v_and_b32_e32 v5, 1, v5
	v_and_b32_e32 v6, 1, v8
	v_cmp_eq_u32_e64 s0, 1, v5
	v_cmp_eq_u32_e64 s1, 1, v6
                                        ; implicit-def: $vgpr5
	s_and_b32 s1, s0, s1
	s_xor_b32 s1, s1, -1
	s_and_saveexec_b32 s3, s1
	s_xor_b32 s1, exec_lo, s3
	s_cbranch_execz .LBB36_547
; %bb.544:
	v_mov_b32_e32 v5, 1
	s_xor_b32 s3, s0, -1
	s_and_saveexec_b32 s0, s3
; %bb.545:
	v_and_b32_e32 v5, 0xffff, v8
	v_mov_b32_e32 v2, v7
	v_mov_b32_e32 v1, v7
; %bb.546:
	s_or_b32 exec_lo, exec_lo, s0
                                        ; implicit-def: $vgpr7
.LBB36_547:
	s_andn2_saveexec_b32 s1, s1
; %bb.548:
	v_cmp_lt_f32_e64 s0, v7, v1
	v_mov_b32_e32 v5, 1
	v_cndmask_b32_e64 v1, v1, v7, s0
	v_cmp_lt_f32_e64 s0, v2, v7
	v_cndmask_b32_e64 v2, v2, v7, s0
; %bb.549:
	s_or_b32 exec_lo, exec_lo, s1
	s_or_b32 exec_lo, exec_lo, s2
	s_and_saveexec_b32 s1, vcc_lo
	s_cbranch_execz .LBB36_557
.LBB36_550:
	v_and_b32_e32 v5, 1, v5
	v_and_b32_e32 v6, 1, v4
	v_cmp_eq_u32_e32 vcc_lo, 1, v5
	v_cmp_eq_u32_e64 s0, 1, v6
                                        ; implicit-def: $vgpr5
	s_and_b32 s0, vcc_lo, s0
	s_xor_b32 s0, s0, -1
	s_and_saveexec_b32 s2, s0
	s_xor_b32 s0, exec_lo, s2
	s_cbranch_execz .LBB36_554
; %bb.551:
	v_mov_b32_e32 v5, 1
	s_xor_b32 s3, vcc_lo, -1
	s_and_saveexec_b32 s2, s3
	s_cbranch_execz .LBB36_553
; %bb.552:
	v_and_b32_e32 v5, 0xffff, v4
	s_waitcnt vmcnt(0)
	v_mov_b32_e32 v2, v3
	v_mov_b32_e32 v1, v3
.LBB36_553:
	s_or_b32 exec_lo, exec_lo, s2
                                        ; implicit-def: $vgpr3
.LBB36_554:
	s_andn2_saveexec_b32 s0, s0
	s_cbranch_execz .LBB36_556
; %bb.555:
	s_waitcnt vmcnt(0)
	v_cmp_lt_f32_e32 vcc_lo, v3, v1
	v_mov_b32_e32 v5, 1
	v_cndmask_b32_e32 v1, v1, v3, vcc_lo
	v_cmp_lt_f32_e32 vcc_lo, v2, v3
	v_cndmask_b32_e32 v2, v2, v3, vcc_lo
.LBB36_556:
	s_or_b32 exec_lo, exec_lo, s0
.LBB36_557:
	s_or_b32 exec_lo, exec_lo, s1
	s_waitcnt vmcnt(0)
	v_mbcnt_lo_u32_b32 v3, -1, 0
	s_min_u32 s0, s12, 0x100
	s_mov_b32 s1, exec_lo
	v_cmp_ne_u32_e32 vcc_lo, 31, v3
	v_add_nc_u32_e32 v9, 1, v3
	v_add_co_ci_u32_e64 v4, null, 0, v3, vcc_lo
	v_lshlrev_b32_e32 v4, 2, v4
	ds_bpermute_b32 v8, v4, v5
	ds_bpermute_b32 v6, v4, v1
	;; [unrolled: 1-line block ×3, first 2 shown]
	v_and_b32_e32 v4, 0xe0, v0
	v_sub_nc_u32_e64 v4, s0, v4 clamp
	v_cmpx_lt_u32_e64 v9, v4
	s_xor_b32 s1, exec_lo, s1
	s_cbranch_execz .LBB36_565
; %bb.558:
	s_waitcnt lgkmcnt(2)
	v_and_b32_e32 v9, v8, v5
	s_mov_b32 s2, exec_lo
	v_cmpx_ne_u32_e32 0, v9
	s_xor_b32 s2, exec_lo, s2
	s_cbranch_execz .LBB36_560
; %bb.559:
	s_waitcnt lgkmcnt(1)
	v_cmp_gt_f32_e32 vcc_lo, v1, v6
                                        ; implicit-def: $vgpr8
                                        ; implicit-def: $vgpr5
	v_cndmask_b32_e32 v6, v1, v6, vcc_lo
	s_waitcnt lgkmcnt(0)
	v_cmp_lt_f32_e32 vcc_lo, v2, v7
	v_cndmask_b32_e32 v7, v2, v7, vcc_lo
                                        ; implicit-def: $vgpr2
.LBB36_560:
	s_or_saveexec_b32 s2, s2
	v_mov_b32_e32 v9, 1
	s_xor_b32 exec_lo, exec_lo, s2
	s_cbranch_execz .LBB36_564
; %bb.561:
	v_and_b32_e32 v5, 1, v5
	s_mov_b32 s3, exec_lo
	v_cmpx_eq_u32_e32 1, v5
	s_cbranch_execz .LBB36_563
; %bb.562:
	v_mov_b32_e32 v8, 1
	s_waitcnt lgkmcnt(0)
	v_mov_b32_e32 v7, v2
	v_mov_b32_e32 v6, v1
.LBB36_563:
	s_or_b32 exec_lo, exec_lo, s3
	v_mov_b32_e32 v9, v8
.LBB36_564:
	s_or_b32 exec_lo, exec_lo, s2
	v_and_b32_e32 v5, 0xff, v9
	s_waitcnt lgkmcnt(1)
	v_mov_b32_e32 v1, v6
	s_waitcnt lgkmcnt(0)
	v_mov_b32_e32 v2, v7
.LBB36_565:
	s_or_b32 exec_lo, exec_lo, s1
	v_cmp_gt_u32_e32 vcc_lo, 30, v3
	v_add_nc_u32_e32 v9, 2, v3
	s_mov_b32 s1, exec_lo
	s_waitcnt lgkmcnt(1)
	v_cndmask_b32_e64 v6, 0, 2, vcc_lo
	v_add_lshl_u32 v6, v6, v3, 2
	ds_bpermute_b32 v8, v6, v5
	s_waitcnt lgkmcnt(1)
	ds_bpermute_b32 v7, v6, v1
	ds_bpermute_b32 v6, v6, v2
	v_cmpx_lt_u32_e64 v9, v4
	s_cbranch_execz .LBB36_573
; %bb.566:
	s_waitcnt lgkmcnt(2)
	v_and_b32_e32 v9, v5, v8
	s_mov_b32 s2, exec_lo
	v_and_b32_e32 v9, 1, v9
	v_cmpx_eq_u32_e32 1, v9
	s_xor_b32 s2, exec_lo, s2
	s_cbranch_execz .LBB36_568
; %bb.567:
	s_waitcnt lgkmcnt(1)
	v_cmp_gt_f32_e32 vcc_lo, v1, v7
                                        ; implicit-def: $vgpr8
                                        ; implicit-def: $vgpr5
	v_cndmask_b32_e32 v7, v1, v7, vcc_lo
	s_waitcnt lgkmcnt(0)
	v_cmp_lt_f32_e32 vcc_lo, v2, v6
	v_cndmask_b32_e32 v6, v2, v6, vcc_lo
                                        ; implicit-def: $vgpr2
.LBB36_568:
	s_or_saveexec_b32 s2, s2
	v_mov_b32_e32 v9, 1
	s_xor_b32 exec_lo, exec_lo, s2
	s_cbranch_execz .LBB36_572
; %bb.569:
	v_and_b32_e32 v5, 1, v5
	s_mov_b32 s3, exec_lo
	v_cmpx_eq_u32_e32 1, v5
	s_cbranch_execz .LBB36_571
; %bb.570:
	v_mov_b32_e32 v8, 1
	s_waitcnt lgkmcnt(0)
	v_mov_b32_e32 v6, v2
	v_mov_b32_e32 v7, v1
.LBB36_571:
	s_or_b32 exec_lo, exec_lo, s3
	v_mov_b32_e32 v9, v8
.LBB36_572:
	s_or_b32 exec_lo, exec_lo, s2
	v_and_b32_e32 v5, 0xff, v9
	s_waitcnt lgkmcnt(1)
	v_mov_b32_e32 v1, v7
	s_waitcnt lgkmcnt(0)
	v_mov_b32_e32 v2, v6
.LBB36_573:
	s_or_b32 exec_lo, exec_lo, s1
	v_cmp_gt_u32_e32 vcc_lo, 28, v3
	v_add_nc_u32_e32 v9, 4, v3
	s_mov_b32 s1, exec_lo
	s_waitcnt lgkmcnt(0)
	v_cndmask_b32_e64 v6, 0, 4, vcc_lo
	v_add_lshl_u32 v6, v6, v3, 2
	ds_bpermute_b32 v8, v6, v5
	ds_bpermute_b32 v7, v6, v1
	;; [unrolled: 1-line block ×3, first 2 shown]
	v_cmpx_lt_u32_e64 v9, v4
	s_cbranch_execz .LBB36_581
; %bb.574:
	s_waitcnt lgkmcnt(2)
	v_and_b32_e32 v9, v5, v8
	s_mov_b32 s2, exec_lo
	v_and_b32_e32 v9, 1, v9
	v_cmpx_eq_u32_e32 1, v9
	s_xor_b32 s2, exec_lo, s2
	s_cbranch_execz .LBB36_576
; %bb.575:
	s_waitcnt lgkmcnt(1)
	v_cmp_gt_f32_e32 vcc_lo, v1, v7
                                        ; implicit-def: $vgpr8
                                        ; implicit-def: $vgpr5
	v_cndmask_b32_e32 v7, v1, v7, vcc_lo
	s_waitcnt lgkmcnt(0)
	v_cmp_lt_f32_e32 vcc_lo, v2, v6
	v_cndmask_b32_e32 v6, v2, v6, vcc_lo
                                        ; implicit-def: $vgpr2
.LBB36_576:
	s_or_saveexec_b32 s2, s2
	v_mov_b32_e32 v9, 1
	s_xor_b32 exec_lo, exec_lo, s2
	s_cbranch_execz .LBB36_580
; %bb.577:
	v_and_b32_e32 v5, 1, v5
	s_mov_b32 s3, exec_lo
	v_cmpx_eq_u32_e32 1, v5
	s_cbranch_execz .LBB36_579
; %bb.578:
	v_mov_b32_e32 v8, 1
	s_waitcnt lgkmcnt(0)
	v_mov_b32_e32 v6, v2
	v_mov_b32_e32 v7, v1
.LBB36_579:
	s_or_b32 exec_lo, exec_lo, s3
	v_mov_b32_e32 v9, v8
.LBB36_580:
	s_or_b32 exec_lo, exec_lo, s2
	v_and_b32_e32 v5, 0xff, v9
	s_waitcnt lgkmcnt(1)
	v_mov_b32_e32 v1, v7
	s_waitcnt lgkmcnt(0)
	v_mov_b32_e32 v2, v6
.LBB36_581:
	s_or_b32 exec_lo, exec_lo, s1
	v_cmp_gt_u32_e32 vcc_lo, 24, v3
	v_add_nc_u32_e32 v9, 8, v3
	s_mov_b32 s1, exec_lo
	s_waitcnt lgkmcnt(0)
	v_cndmask_b32_e64 v6, 0, 8, vcc_lo
	v_add_lshl_u32 v6, v6, v3, 2
	ds_bpermute_b32 v8, v6, v5
	ds_bpermute_b32 v7, v6, v1
	;; [unrolled: 1-line block ×3, first 2 shown]
	v_cmpx_lt_u32_e64 v9, v4
	s_cbranch_execz .LBB36_589
; %bb.582:
	s_waitcnt lgkmcnt(2)
	v_and_b32_e32 v9, v5, v8
	s_mov_b32 s2, exec_lo
	v_and_b32_e32 v9, 1, v9
	v_cmpx_eq_u32_e32 1, v9
	s_xor_b32 s2, exec_lo, s2
	s_cbranch_execz .LBB36_584
; %bb.583:
	s_waitcnt lgkmcnt(1)
	v_cmp_gt_f32_e32 vcc_lo, v1, v7
                                        ; implicit-def: $vgpr8
                                        ; implicit-def: $vgpr5
	v_cndmask_b32_e32 v7, v1, v7, vcc_lo
	s_waitcnt lgkmcnt(0)
	v_cmp_lt_f32_e32 vcc_lo, v2, v6
	v_cndmask_b32_e32 v6, v2, v6, vcc_lo
                                        ; implicit-def: $vgpr2
.LBB36_584:
	s_or_saveexec_b32 s2, s2
	v_mov_b32_e32 v9, 1
	s_xor_b32 exec_lo, exec_lo, s2
	s_cbranch_execz .LBB36_588
; %bb.585:
	v_and_b32_e32 v5, 1, v5
	s_mov_b32 s3, exec_lo
	v_cmpx_eq_u32_e32 1, v5
	s_cbranch_execz .LBB36_587
; %bb.586:
	v_mov_b32_e32 v8, 1
	s_waitcnt lgkmcnt(0)
	v_mov_b32_e32 v6, v2
	v_mov_b32_e32 v7, v1
.LBB36_587:
	s_or_b32 exec_lo, exec_lo, s3
	v_mov_b32_e32 v9, v8
.LBB36_588:
	s_or_b32 exec_lo, exec_lo, s2
	v_and_b32_e32 v5, 0xff, v9
	s_waitcnt lgkmcnt(1)
	v_mov_b32_e32 v1, v7
	s_waitcnt lgkmcnt(0)
	v_mov_b32_e32 v2, v6
.LBB36_589:
	s_or_b32 exec_lo, exec_lo, s1
	s_waitcnt lgkmcnt(0)
	v_lshlrev_b32_e32 v6, 2, v3
	v_add_nc_u32_e32 v10, 16, v3
	v_or_b32_e32 v8, 64, v6
	v_cmp_lt_u32_e32 vcc_lo, v10, v4
	v_mov_b32_e32 v4, v5
	ds_bpermute_b32 v9, v8, v5
	ds_bpermute_b32 v7, v8, v1
	;; [unrolled: 1-line block ×3, first 2 shown]
	s_and_saveexec_b32 s1, vcc_lo
	s_cbranch_execz .LBB36_597
; %bb.590:
	s_waitcnt lgkmcnt(2)
	v_and_b32_e32 v4, v5, v9
	s_mov_b32 s2, exec_lo
	v_and_b32_e32 v4, 1, v4
	v_cmpx_eq_u32_e32 1, v4
	s_xor_b32 s2, exec_lo, s2
	s_cbranch_execz .LBB36_592
; %bb.591:
	s_waitcnt lgkmcnt(1)
	v_cmp_gt_f32_e32 vcc_lo, v1, v7
                                        ; implicit-def: $vgpr9
                                        ; implicit-def: $vgpr5
	v_cndmask_b32_e32 v7, v1, v7, vcc_lo
	s_waitcnt lgkmcnt(0)
	v_cmp_lt_f32_e32 vcc_lo, v2, v8
	v_cndmask_b32_e32 v8, v2, v8, vcc_lo
                                        ; implicit-def: $vgpr2
.LBB36_592:
	s_or_saveexec_b32 s2, s2
	v_mov_b32_e32 v4, 1
	s_xor_b32 exec_lo, exec_lo, s2
	s_cbranch_execz .LBB36_596
; %bb.593:
	v_and_b32_e32 v4, 1, v5
	s_mov_b32 s3, exec_lo
	v_cmpx_eq_u32_e32 1, v4
	s_cbranch_execz .LBB36_595
; %bb.594:
	v_mov_b32_e32 v9, 1
	s_waitcnt lgkmcnt(0)
	v_mov_b32_e32 v8, v2
	v_mov_b32_e32 v7, v1
.LBB36_595:
	s_or_b32 exec_lo, exec_lo, s3
	v_mov_b32_e32 v4, v9
.LBB36_596:
	s_or_b32 exec_lo, exec_lo, s2
	v_and_b32_e32 v5, 0xff, v4
	s_waitcnt lgkmcnt(0)
	v_mov_b32_e32 v2, v8
	v_mov_b32_e32 v1, v7
.LBB36_597:
	s_or_b32 exec_lo, exec_lo, s1
	s_mov_b32 s1, exec_lo
	v_cmpx_eq_u32_e32 0, v3
	s_cbranch_execz .LBB36_599
; %bb.598:
	s_waitcnt lgkmcnt(1)
	v_lshrrev_b32_e32 v7, 5, v0
	v_mul_u32_u24_e32 v7, 12, v7
	ds_write_b8 v7, v4
	ds_write2_b32 v7, v1, v2 offset0:1 offset1:2
.LBB36_599:
	s_or_b32 exec_lo, exec_lo, s1
	s_mov_b32 s1, exec_lo
	s_waitcnt lgkmcnt(0)
	s_barrier
	buffer_gl0_inv
	v_cmpx_gt_u32_e32 8, v0
	s_cbranch_execz .LBB36_625
; %bb.600:
	v_mul_u32_u24_e32 v1, 12, v3
	v_and_b32_e32 v4, 7, v3
	s_add_i32 s0, s0, 31
	ds_read_u8 v10, v1
	ds_read2_b32 v[1:2], v1 offset0:1 offset1:2
	v_cmp_ne_u32_e32 vcc_lo, 7, v4
	v_add_nc_u32_e32 v11, 1, v4
	s_lshr_b32 s0, s0, 5
	v_add_co_ci_u32_e64 v5, null, 0, v3, vcc_lo
	v_cmp_gt_u32_e32 vcc_lo, s0, v11
	v_lshlrev_b32_e32 v8, 2, v5
	s_waitcnt lgkmcnt(1)
	v_and_b32_e32 v5, 0xff, v10
	s_waitcnt lgkmcnt(0)
	ds_bpermute_b32 v7, v8, v1
	v_mov_b32_e32 v11, v1
	v_mov_b32_e32 v12, v2
	ds_bpermute_b32 v9, v8, v5
	ds_bpermute_b32 v8, v8, v2
	s_and_saveexec_b32 s2, vcc_lo
	s_cbranch_execz .LBB36_608
; %bb.601:
	s_waitcnt lgkmcnt(1)
	v_and_b32_e32 v5, v5, v9
	s_mov_b32 s3, exec_lo
	v_and_b32_e32 v5, 1, v5
	v_cmpx_eq_u32_e32 1, v5
	s_xor_b32 s3, exec_lo, s3
	s_cbranch_execz .LBB36_603
; %bb.602:
	v_cmp_gt_f32_e32 vcc_lo, v1, v7
                                        ; implicit-def: $vgpr9
                                        ; implicit-def: $vgpr10
	v_cndmask_b32_e32 v7, v1, v7, vcc_lo
	s_waitcnt lgkmcnt(0)
	v_cmp_lt_f32_e32 vcc_lo, v2, v8
	v_cndmask_b32_e32 v8, v2, v8, vcc_lo
                                        ; implicit-def: $vgpr2
.LBB36_603:
	s_or_saveexec_b32 s3, s3
	v_mov_b32_e32 v5, 1
	s_xor_b32 exec_lo, exec_lo, s3
	s_cbranch_execz .LBB36_607
; %bb.604:
	v_and_b32_e32 v5, 1, v10
	s_mov_b32 s4, exec_lo
	v_cmpx_eq_u32_e32 1, v5
	s_cbranch_execz .LBB36_606
; %bb.605:
	v_mov_b32_e32 v9, 1
	s_waitcnt lgkmcnt(0)
	v_mov_b32_e32 v8, v2
	v_mov_b32_e32 v7, v1
.LBB36_606:
	s_or_b32 exec_lo, exec_lo, s4
	v_mov_b32_e32 v5, v9
.LBB36_607:
	s_or_b32 exec_lo, exec_lo, s3
	v_and_b32_e32 v5, 0xff, v5
	v_mov_b32_e32 v11, v7
	s_waitcnt lgkmcnt(0)
	v_mov_b32_e32 v12, v8
	v_mov_b32_e32 v2, v8
	;; [unrolled: 1-line block ×3, first 2 shown]
.LBB36_608:
	s_or_b32 exec_lo, exec_lo, s2
	v_cmp_gt_u32_e32 vcc_lo, 6, v4
	s_waitcnt lgkmcnt(1)
	v_add_nc_u32_e32 v9, 2, v4
	s_mov_b32 s2, exec_lo
	v_cndmask_b32_e64 v7, 0, 2, vcc_lo
	v_add_lshl_u32 v7, v7, v3, 2
	s_waitcnt lgkmcnt(0)
	ds_bpermute_b32 v8, v7, v5
	ds_bpermute_b32 v3, v7, v11
	ds_bpermute_b32 v7, v7, v12
	v_cmpx_gt_u32_e64 s0, v9
	s_cbranch_execz .LBB36_616
; %bb.609:
	s_waitcnt lgkmcnt(2)
	v_and_b32_e32 v9, v5, v8
	s_mov_b32 s3, exec_lo
	v_and_b32_e32 v9, 1, v9
	v_cmpx_eq_u32_e32 1, v9
	s_xor_b32 s3, exec_lo, s3
	s_cbranch_execz .LBB36_611
; %bb.610:
	s_waitcnt lgkmcnt(1)
	v_cmp_gt_f32_e32 vcc_lo, v1, v3
                                        ; implicit-def: $vgpr8
                                        ; implicit-def: $vgpr5
	v_cndmask_b32_e32 v3, v1, v3, vcc_lo
	s_waitcnt lgkmcnt(0)
	v_cmp_lt_f32_e32 vcc_lo, v2, v7
	v_cndmask_b32_e32 v7, v2, v7, vcc_lo
                                        ; implicit-def: $vgpr2
.LBB36_611:
	s_or_saveexec_b32 s3, s3
	v_mov_b32_e32 v9, 1
	s_xor_b32 exec_lo, exec_lo, s3
	s_cbranch_execz .LBB36_615
; %bb.612:
	v_and_b32_e32 v5, 1, v5
	s_mov_b32 s4, exec_lo
	v_cmpx_eq_u32_e32 1, v5
	s_cbranch_execz .LBB36_614
; %bb.613:
	v_mov_b32_e32 v8, 1
	s_waitcnt lgkmcnt(0)
	v_mov_b32_e32 v7, v2
	v_mov_b32_e32 v3, v1
.LBB36_614:
	s_or_b32 exec_lo, exec_lo, s4
	v_mov_b32_e32 v9, v8
.LBB36_615:
	s_or_b32 exec_lo, exec_lo, s3
	v_and_b32_e32 v5, 0xff, v9
	s_waitcnt lgkmcnt(1)
	v_mov_b32_e32 v11, v3
	s_waitcnt lgkmcnt(0)
	v_mov_b32_e32 v12, v7
	v_mov_b32_e32 v2, v7
	;; [unrolled: 1-line block ×3, first 2 shown]
.LBB36_616:
	s_or_b32 exec_lo, exec_lo, s2
	v_or_b32_e32 v6, 16, v6
	v_add_nc_u32_e32 v4, 4, v4
	s_waitcnt lgkmcnt(0)
	ds_bpermute_b32 v7, v6, v5
	ds_bpermute_b32 v3, v6, v11
	;; [unrolled: 1-line block ×3, first 2 shown]
	v_cmp_gt_u32_e32 vcc_lo, s0, v4
	s_and_saveexec_b32 s0, vcc_lo
	s_cbranch_execz .LBB36_624
; %bb.617:
	s_waitcnt lgkmcnt(2)
	v_and_b32_e32 v4, v5, v7
	s_mov_b32 s2, exec_lo
	v_and_b32_e32 v4, 1, v4
	v_cmpx_eq_u32_e32 1, v4
	s_xor_b32 s2, exec_lo, s2
	s_cbranch_execz .LBB36_619
; %bb.618:
	s_waitcnt lgkmcnt(1)
	v_cmp_gt_f32_e32 vcc_lo, v1, v3
                                        ; implicit-def: $vgpr7
                                        ; implicit-def: $vgpr5
	v_cndmask_b32_e32 v3, v1, v3, vcc_lo
	s_waitcnt lgkmcnt(0)
	v_cmp_lt_f32_e32 vcc_lo, v2, v6
	v_cndmask_b32_e32 v6, v2, v6, vcc_lo
                                        ; implicit-def: $vgpr2
.LBB36_619:
	s_or_saveexec_b32 s2, s2
	v_mov_b32_e32 v4, 1
	s_xor_b32 exec_lo, exec_lo, s2
	s_cbranch_execz .LBB36_623
; %bb.620:
	v_and_b32_e32 v4, 1, v5
	s_mov_b32 s3, exec_lo
	v_cmpx_eq_u32_e32 1, v4
	s_cbranch_execz .LBB36_622
; %bb.621:
	v_mov_b32_e32 v7, 1
	s_waitcnt lgkmcnt(0)
	v_mov_b32_e32 v6, v2
	v_mov_b32_e32 v3, v1
.LBB36_622:
	s_or_b32 exec_lo, exec_lo, s3
	v_mov_b32_e32 v4, v7
.LBB36_623:
	s_or_b32 exec_lo, exec_lo, s2
	s_waitcnt lgkmcnt(0)
	v_mov_b32_e32 v2, v6
	v_mov_b32_e32 v1, v3
	;; [unrolled: 1-line block ×3, first 2 shown]
.LBB36_624:
	s_or_b32 exec_lo, exec_lo, s0
.LBB36_625:
	s_or_b32 exec_lo, exec_lo, s1
.LBB36_626:
	s_mov_b32 s0, exec_lo
                                        ; implicit-def: $vgpr4
                                        ; implicit-def: $vgpr6
	v_cmpx_eq_u32_e32 0, v0
	s_xor_b32 s0, exec_lo, s0
	s_cbranch_execz .LBB36_634
; %bb.627:
	v_mov_b32_e32 v4, s19
	s_waitcnt lgkmcnt(1)
	v_mov_b32_e32 v3, s18
	s_waitcnt lgkmcnt(0)
	v_mov_b32_e32 v6, s30
	s_cmp_eq_u64 s[24:25], 0
	s_cbranch_scc1 .LBB36_633
; %bb.628:
	v_and_b32_e32 v3, 1, v5
	s_bitcmp1_b32 s30, 0
                                        ; implicit-def: $vgpr6
	s_cselect_b32 s1, -1, 0
	v_cmp_eq_u32_e32 vcc_lo, 1, v3
                                        ; implicit-def: $vgpr4
	s_and_b32 s2, s1, vcc_lo
	s_xor_b32 s2, s2, -1
	s_and_saveexec_b32 s3, s2
	s_xor_b32 s2, exec_lo, s3
; %bb.629:
	v_cndmask_b32_e64 v6, v5, 1, s1
	v_cndmask_b32_e64 v3, v1, s18, s1
	v_cndmask_b32_e64 v4, v2, s19, s1
                                        ; implicit-def: $vgpr1
; %bb.630:
	s_andn2_saveexec_b32 s1, s2
; %bb.631:
	v_cmp_gt_f32_e32 vcc_lo, s18, v1
	v_mov_b32_e32 v6, 1
	v_cndmask_b32_e32 v3, s18, v1, vcc_lo
	v_cmp_lt_f32_e32 vcc_lo, s19, v2
	v_cndmask_b32_e32 v4, s19, v2, vcc_lo
; %bb.632:
	s_or_b32 exec_lo, exec_lo, s1
.LBB36_633:
	s_or_b32 s10, s10, exec_lo
.LBB36_634:
	s_or_b32 exec_lo, exec_lo, s0
	s_branch .LBB36_709
.LBB36_635:
	s_cmp_eq_u32 s28, 4
	s_cbranch_scc0 .LBB36_708
; %bb.636:
	s_mov_b32 s7, 0
	s_lshl_b32 s4, s6, 10
	s_mov_b32 s5, s7
	s_lshr_b64 s[0:1], s[24:25], 10
	s_lshl_b64 s[2:3], s[4:5], 2
	s_add_i32 s5, s29, s4
	s_add_u32 s2, s20, s2
	s_addc_u32 s3, s21, s3
	s_cmp_lg_u64 s[0:1], s[6:7]
	s_cbranch_scc0 .LBB36_710
; %bb.637:
	s_waitcnt lgkmcnt(1)
	v_lshlrev_b32_e32 v3, 2, v0
	s_abs_i32 s8, s23
	v_add_co_u32 v1, s0, s2, v3
	s_waitcnt lgkmcnt(0)
	v_add_co_ci_u32_e64 v2, null, s3, 0, s0
	s_sub_i32 s0, 0, s8
	v_add_co_u32 v1, vcc_lo, 0x800, v1
	v_add_co_ci_u32_e64 v2, null, 0, v2, vcc_lo
	s_clause 0x3
	global_load_dword v4, v3, s[2:3]
	global_load_dword v9, v3, s[2:3] offset:1024
	global_load_dword v6, v[1:2], off
	global_load_dword v5, v[1:2], off offset:1024
	v_cvt_f32_u32_e32 v1, s8
	v_add_nc_u32_e32 v3, s5, v0
	v_rcp_iflag_f32_e32 v1, v1
	v_sub_nc_u32_e32 v7, 0, v3
	v_sub_nc_u32_e32 v8, 0xffffff00, v3
	v_ashrrev_i32_e32 v12, 31, v3
	v_max_i32_e32 v7, v3, v7
	v_mul_f32_e32 v1, 0x4f7ffffe, v1
	v_cvt_u32_f32_e32 v1, v1
	v_mul_lo_u32 v2, s0, v1
	v_mul_hi_u32 v2, v1, v2
	v_add_nc_u32_e32 v1, v1, v2
	v_add_nc_u32_e32 v2, 0x100, v3
	v_mul_hi_u32 v10, v7, v1
	v_max_i32_e32 v8, v2, v8
	v_ashrrev_i32_e32 v2, 31, v2
	v_mul_hi_u32 v11, v8, v1
	v_mul_lo_u32 v10, v10, s8
	v_sub_nc_u32_e32 v7, v7, v10
	v_mul_lo_u32 v10, v11, s8
	v_subrev_nc_u32_e32 v11, s8, v7
	v_cmp_le_u32_e32 vcc_lo, s8, v7
	v_sub_nc_u32_e32 v8, v8, v10
	v_cndmask_b32_e32 v7, v7, v11, vcc_lo
	v_subrev_nc_u32_e32 v10, s8, v8
	v_cmp_le_u32_e32 vcc_lo, s8, v8
	v_subrev_nc_u32_e32 v11, s8, v7
	v_cndmask_b32_e32 v8, v8, v10, vcc_lo
	v_cmp_le_u32_e32 vcc_lo, s8, v7
	v_subrev_nc_u32_e32 v10, s8, v8
	v_cndmask_b32_e32 v7, v7, v11, vcc_lo
	v_cmp_le_u32_e32 vcc_lo, s8, v8
	v_add_nc_u32_e32 v11, 0x200, v3
	v_xor_b32_e32 v7, v7, v12
	v_cndmask_b32_e32 v8, v8, v10, vcc_lo
	v_sub_nc_u32_e32 v10, 0xfffffe00, v3
	v_sub_nc_u32_e32 v7, v7, v12
	v_xor_b32_e32 v8, v8, v2
	v_max_i32_e32 v10, v11, v10
	v_sub_nc_u32_e32 v12, 0xfffffd00, v3
	v_cmp_le_i32_e64 s0, s22, v7
	v_sub_nc_u32_e32 v7, v8, v2
	v_add_nc_u32_e32 v8, 0x300, v3
	v_mad_u64_u32 v[2:3], null, v10, v1, 0
	v_cmp_le_i32_e64 s1, s22, v7
	v_cmp_gt_i32_e32 vcc_lo, s22, v7
	v_max_i32_e32 v7, v8, v12
	s_or_b32 s9, s0, s1
                                        ; implicit-def: $sgpr1
	s_and_saveexec_b32 s11, s9
	s_xor_b32 s9, exec_lo, s11
	s_cbranch_execz .LBB36_641
; %bb.638:
	s_mov_b32 s1, -1
	s_and_saveexec_b32 s11, s0
	s_cbranch_execz .LBB36_640
; %bb.639:
	s_waitcnt vmcnt(2)
	v_mov_b32_e32 v4, v9
	s_orn2_b32 s1, vcc_lo, exec_lo
.LBB36_640:
	s_or_b32 exec_lo, exec_lo, s11
                                        ; implicit-def: $vgpr9
.LBB36_641:
	s_or_saveexec_b32 s0, s9
	v_mad_u64_u32 v[1:2], null, v7, v1, 0
	v_ashrrev_i32_e32 v11, 31, v11
	s_waitcnt vmcnt(3)
	v_mov_b32_e32 v1, v4
	s_xor_b32 exec_lo, exec_lo, s0
	s_cbranch_execz .LBB36_643
; %bb.642:
	s_waitcnt vmcnt(2)
	v_cmp_lt_f32_e32 vcc_lo, v9, v4
	s_or_b32 s1, s1, exec_lo
	v_cndmask_b32_e32 v12, v4, v9, vcc_lo
	v_cmp_lt_f32_e32 vcc_lo, v4, v9
	v_cndmask_b32_e32 v1, v4, v9, vcc_lo
	v_mov_b32_e32 v4, v12
.LBB36_643:
	s_or_b32 exec_lo, exec_lo, s0
	v_mul_lo_u32 v3, v3, s8
	s_mov_b32 s0, -1
	v_sub_nc_u32_e32 v3, v10, v3
	s_waitcnt vmcnt(2)
	v_subrev_nc_u32_e32 v9, s8, v3
	v_cmp_le_u32_e32 vcc_lo, s8, v3
	v_cndmask_b32_e32 v3, v3, v9, vcc_lo
	v_subrev_nc_u32_e32 v9, s8, v3
	v_cmp_le_u32_e32 vcc_lo, s8, v3
	v_cndmask_b32_e32 v3, v3, v9, vcc_lo
	v_xor_b32_e32 v3, v3, v11
	v_sub_nc_u32_e32 v3, v3, v11
	v_cmp_gt_i32_e32 vcc_lo, s22, v3
	s_and_b32 s9, vcc_lo, s1
	s_xor_b32 s9, s9, -1
	s_and_saveexec_b32 s11, s9
	s_xor_b32 s9, exec_lo, s11
	s_cbranch_execz .LBB36_647
; %bb.644:
	s_xor_b32 s11, s1, -1
	s_and_saveexec_b32 s1, s11
	s_cbranch_execz .LBB36_646
; %bb.645:
	s_waitcnt vmcnt(1)
	v_mov_b32_e32 v1, v6
	v_mov_b32_e32 v4, v6
	s_orn2_b32 s0, vcc_lo, exec_lo
.LBB36_646:
	s_or_b32 exec_lo, exec_lo, s1
                                        ; implicit-def: $vgpr6
.LBB36_647:
	s_or_saveexec_b32 s1, s9
	v_ashrrev_i32_e32 v3, 31, v8
	s_xor_b32 exec_lo, exec_lo, s1
	s_cbranch_execz .LBB36_649
; %bb.648:
	s_waitcnt vmcnt(1)
	v_cmp_lt_f32_e32 vcc_lo, v6, v4
	s_or_b32 s0, s0, exec_lo
	v_cndmask_b32_e32 v4, v4, v6, vcc_lo
	v_cmp_lt_f32_e32 vcc_lo, v1, v6
	v_cndmask_b32_e32 v1, v1, v6, vcc_lo
.LBB36_649:
	s_or_b32 exec_lo, exec_lo, s1
	v_mul_lo_u32 v2, v2, s8
	v_sub_nc_u32_e32 v2, v7, v2
	s_waitcnt vmcnt(1)
	v_subrev_nc_u32_e32 v6, s8, v2
	v_cmp_le_u32_e32 vcc_lo, s8, v2
	v_cndmask_b32_e32 v2, v2, v6, vcc_lo
	v_subrev_nc_u32_e32 v6, s8, v2
	v_cmp_le_u32_e32 vcc_lo, s8, v2
	v_cndmask_b32_e32 v2, v2, v6, vcc_lo
	v_xor_b32_e32 v2, v2, v3
	v_sub_nc_u32_e32 v2, v2, v3
	v_cmp_gt_i32_e32 vcc_lo, s22, v2
                                        ; implicit-def: $vgpr2
	s_and_b32 s1, vcc_lo, s0
	s_xor_b32 s1, s1, -1
	s_and_saveexec_b32 s8, s1
	s_xor_b32 s1, exec_lo, s8
	s_cbranch_execz .LBB36_653
; %bb.650:
	v_mov_b32_e32 v2, 1
	s_xor_b32 s8, s0, -1
	s_and_saveexec_b32 s0, s8
	s_cbranch_execz .LBB36_652
; %bb.651:
	v_cndmask_b32_e64 v2, 0, 1, vcc_lo
	s_waitcnt vmcnt(0)
	v_mov_b32_e32 v1, v5
	v_mov_b32_e32 v4, v5
.LBB36_652:
	s_or_b32 exec_lo, exec_lo, s0
                                        ; implicit-def: $vgpr5
.LBB36_653:
	s_andn2_saveexec_b32 s0, s1
	s_cbranch_execz .LBB36_655
; %bb.654:
	s_waitcnt vmcnt(0)
	v_cmp_lt_f32_e32 vcc_lo, v5, v4
	v_mov_b32_e32 v2, 1
	v_cndmask_b32_e32 v4, v4, v5, vcc_lo
	v_cmp_lt_f32_e32 vcc_lo, v1, v5
	v_cndmask_b32_e32 v1, v1, v5, vcc_lo
.LBB36_655:
	s_or_b32 exec_lo, exec_lo, s0
	v_and_b32_e32 v6, 0xff, v2
	v_and_b32_e32 v2, 1, v2
                                        ; implicit-def: $vgpr5
	v_mov_b32_dpp v3, v6 quad_perm:[1,0,3,2] row_mask:0xf bank_mask:0xf
	v_cmp_eq_u32_e64 s0, 1, v2
	v_mov_b32_dpp v2, v4 quad_perm:[1,0,3,2] row_mask:0xf bank_mask:0xf
	v_and_b32_e32 v3, 1, v3
	v_cmp_eq_u32_e32 vcc_lo, 1, v3
	v_mov_b32_dpp v3, v1 quad_perm:[1,0,3,2] row_mask:0xf bank_mask:0xf
	s_and_b32 s0, vcc_lo, s0
	s_xor_b32 s0, s0, -1
	s_and_saveexec_b32 s1, s0
	s_xor_b32 s0, exec_lo, s1
	s_cbranch_execz .LBB36_659
; %bb.656:
	s_waitcnt vmcnt(0)
	v_mov_b32_e32 v5, 1
	s_xor_b32 s8, vcc_lo, -1
	s_and_saveexec_b32 s1, s8
; %bb.657:
	v_mov_b32_e32 v3, v1
	v_mov_b32_e32 v2, v4
	;; [unrolled: 1-line block ×3, first 2 shown]
; %bb.658:
	s_or_b32 exec_lo, exec_lo, s1
                                        ; implicit-def: $vgpr4
                                        ; implicit-def: $vgpr1
.LBB36_659:
	s_andn2_saveexec_b32 s0, s0
	s_cbranch_execz .LBB36_661
; %bb.660:
	v_cmp_lt_f32_e32 vcc_lo, v4, v2
	s_waitcnt vmcnt(0)
	v_mov_b32_e32 v5, 1
	v_cndmask_b32_e32 v2, v2, v4, vcc_lo
	v_cmp_gt_f32_e32 vcc_lo, v1, v3
	v_cndmask_b32_e32 v3, v3, v1, vcc_lo
.LBB36_661:
	s_or_b32 exec_lo, exec_lo, s0
	s_waitcnt vmcnt(0)
	v_mov_b32_dpp v1, v5 quad_perm:[2,3,0,1] row_mask:0xf bank_mask:0xf
	v_and_b32_e32 v4, v1, v5
	v_and_b32_e32 v6, 1, v1
	v_mov_b32_dpp v1, v2 quad_perm:[2,3,0,1] row_mask:0xf bank_mask:0xf
	v_and_b32_e32 v7, 1, v4
	v_mov_b32_dpp v4, v3 quad_perm:[2,3,0,1] row_mask:0xf bank_mask:0xf
	v_cmp_ne_u32_e32 vcc_lo, 1, v6
                                        ; implicit-def: $vgpr6
	v_cmp_ne_u32_e64 s0, 1, v7
	s_and_saveexec_b32 s1, s0
	s_xor_b32 s0, exec_lo, s1
	s_cbranch_execz .LBB36_665
; %bb.662:
	v_mov_b32_e32 v6, 1
	s_and_saveexec_b32 s1, vcc_lo
; %bb.663:
	v_mov_b32_e32 v4, v3
	v_mov_b32_e32 v1, v2
	;; [unrolled: 1-line block ×3, first 2 shown]
; %bb.664:
	s_or_b32 exec_lo, exec_lo, s1
                                        ; implicit-def: $vgpr2
                                        ; implicit-def: $vgpr3
.LBB36_665:
	s_andn2_saveexec_b32 s0, s0
; %bb.666:
	v_cmp_lt_f32_e32 vcc_lo, v2, v1
	v_mov_b32_e32 v6, 1
	v_cndmask_b32_e32 v1, v1, v2, vcc_lo
	v_cmp_gt_f32_e32 vcc_lo, v3, v4
	v_cndmask_b32_e32 v4, v4, v3, vcc_lo
; %bb.667:
	s_or_b32 exec_lo, exec_lo, s0
	v_mov_b32_dpp v2, v6 row_ror:4 row_mask:0xf bank_mask:0xf
	v_and_b32_e32 v3, v2, v6
	v_and_b32_e32 v5, 1, v2
	v_mov_b32_dpp v2, v1 row_ror:4 row_mask:0xf bank_mask:0xf
	v_and_b32_e32 v7, 1, v3
	v_mov_b32_dpp v3, v4 row_ror:4 row_mask:0xf bank_mask:0xf
	v_cmp_ne_u32_e32 vcc_lo, 1, v5
                                        ; implicit-def: $vgpr5
	v_cmp_ne_u32_e64 s0, 1, v7
	s_and_saveexec_b32 s1, s0
	s_xor_b32 s0, exec_lo, s1
	s_cbranch_execz .LBB36_671
; %bb.668:
	v_mov_b32_e32 v5, 1
	s_and_saveexec_b32 s1, vcc_lo
; %bb.669:
	v_mov_b32_e32 v3, v4
	v_mov_b32_e32 v2, v1
	;; [unrolled: 1-line block ×3, first 2 shown]
; %bb.670:
	s_or_b32 exec_lo, exec_lo, s1
                                        ; implicit-def: $vgpr1
                                        ; implicit-def: $vgpr4
.LBB36_671:
	s_andn2_saveexec_b32 s0, s0
; %bb.672:
	v_cmp_lt_f32_e32 vcc_lo, v1, v2
	v_mov_b32_e32 v5, 1
	v_cndmask_b32_e32 v2, v2, v1, vcc_lo
	v_cmp_gt_f32_e32 vcc_lo, v4, v3
	v_cndmask_b32_e32 v3, v3, v4, vcc_lo
; %bb.673:
	s_or_b32 exec_lo, exec_lo, s0
	v_mov_b32_dpp v1, v5 row_ror:8 row_mask:0xf bank_mask:0xf
	v_and_b32_e32 v4, v1, v5
	v_and_b32_e32 v6, 1, v1
	v_mov_b32_dpp v1, v2 row_ror:8 row_mask:0xf bank_mask:0xf
	v_and_b32_e32 v7, 1, v4
	v_mov_b32_dpp v4, v3 row_ror:8 row_mask:0xf bank_mask:0xf
	v_cmp_ne_u32_e32 vcc_lo, 1, v6
                                        ; implicit-def: $vgpr6
	v_cmp_ne_u32_e64 s0, 1, v7
	s_and_saveexec_b32 s1, s0
	s_xor_b32 s0, exec_lo, s1
	s_cbranch_execz .LBB36_677
; %bb.674:
	v_mov_b32_e32 v6, 1
	s_and_saveexec_b32 s1, vcc_lo
; %bb.675:
	v_mov_b32_e32 v4, v3
	v_mov_b32_e32 v1, v2
	;; [unrolled: 1-line block ×3, first 2 shown]
; %bb.676:
	s_or_b32 exec_lo, exec_lo, s1
                                        ; implicit-def: $vgpr2
                                        ; implicit-def: $vgpr3
.LBB36_677:
	s_andn2_saveexec_b32 s0, s0
; %bb.678:
	v_cmp_lt_f32_e32 vcc_lo, v2, v1
	v_mov_b32_e32 v6, 1
	v_cndmask_b32_e32 v1, v1, v2, vcc_lo
	v_cmp_gt_f32_e32 vcc_lo, v3, v4
	v_cndmask_b32_e32 v4, v4, v3, vcc_lo
; %bb.679:
	s_or_b32 exec_lo, exec_lo, s0
	ds_swizzle_b32 v5, v6 offset:swizzle(BROADCAST,32,15)
	ds_swizzle_b32 v3, v1 offset:swizzle(BROADCAST,32,15)
	;; [unrolled: 1-line block ×3, first 2 shown]
	s_waitcnt lgkmcnt(2)
	v_and_b32_e32 v7, v5, v6
	v_and_b32_e32 v5, 1, v5
	;; [unrolled: 1-line block ×3, first 2 shown]
	v_cmp_ne_u32_e32 vcc_lo, 1, v5
                                        ; implicit-def: $vgpr5
	v_cmp_ne_u32_e64 s0, 1, v7
	s_and_saveexec_b32 s1, s0
	s_xor_b32 s0, exec_lo, s1
	s_cbranch_execz .LBB36_683
; %bb.680:
	v_mov_b32_e32 v5, 1
	s_and_saveexec_b32 s1, vcc_lo
	s_cbranch_execz .LBB36_682
; %bb.681:
	s_waitcnt lgkmcnt(0)
	v_mov_b32_e32 v2, v4
	v_mov_b32_e32 v3, v1
	;; [unrolled: 1-line block ×3, first 2 shown]
.LBB36_682:
	s_or_b32 exec_lo, exec_lo, s1
                                        ; implicit-def: $vgpr1
                                        ; implicit-def: $vgpr4
.LBB36_683:
	s_andn2_saveexec_b32 s0, s0
	s_cbranch_execz .LBB36_685
; %bb.684:
	s_waitcnt lgkmcnt(1)
	v_cmp_lt_f32_e32 vcc_lo, v1, v3
	v_mov_b32_e32 v5, 1
	v_cndmask_b32_e32 v3, v3, v1, vcc_lo
	s_waitcnt lgkmcnt(0)
	v_cmp_gt_f32_e32 vcc_lo, v4, v2
	v_cndmask_b32_e32 v2, v2, v4, vcc_lo
.LBB36_685:
	s_or_b32 exec_lo, exec_lo, s0
	v_mov_b32_e32 v4, 0
	s_mov_b32 s0, exec_lo
	ds_bpermute_b32 v5, v4, v5 offset:124
	s_waitcnt lgkmcnt(2)
	ds_bpermute_b32 v1, v4, v3 offset:124
	s_waitcnt lgkmcnt(2)
	ds_bpermute_b32 v2, v4, v2 offset:124
	v_mbcnt_lo_u32_b32 v3, -1, 0
	v_cmpx_eq_u32_e32 0, v3
	s_cbranch_execz .LBB36_687
; %bb.686:
	v_lshrrev_b32_e32 v4, 5, v0
	v_mul_u32_u24_e32 v4, 12, v4
	s_waitcnt lgkmcnt(2)
	ds_write_b8 v4, v5 offset:384
	s_waitcnt lgkmcnt(1)
	ds_write2_b32 v4, v1, v2 offset0:97 offset1:98
.LBB36_687:
	s_or_b32 exec_lo, exec_lo, s0
	s_mov_b32 s0, exec_lo
	s_waitcnt lgkmcnt(0)
	s_barrier
	buffer_gl0_inv
	v_cmpx_gt_u32_e32 32, v0
	s_cbranch_execz .LBB36_707
; %bb.688:
	v_and_b32_e32 v6, 7, v3
	s_mov_b32 s1, exec_lo
	v_mul_u32_u24_e32 v1, 12, v6
	v_cmp_ne_u32_e32 vcc_lo, 7, v6
	ds_read_u8 v9, v1 offset:384
	v_add_co_ci_u32_e64 v4, null, 0, v3, vcc_lo
	ds_read2_b32 v[1:2], v1 offset0:97 offset1:98
	v_lshlrev_b32_e32 v4, 2, v4
	s_waitcnt lgkmcnt(1)
	v_and_b32_e32 v5, 0xff, v9
	ds_bpermute_b32 v7, v4, v5
	s_waitcnt lgkmcnt(1)
	ds_bpermute_b32 v5, v4, v1
	ds_bpermute_b32 v4, v4, v2
	s_waitcnt lgkmcnt(2)
	v_and_b32_e32 v8, v9, v7
	v_and_b32_e32 v8, 1, v8
	v_cmpx_eq_u32_e32 1, v8
	s_xor_b32 s1, exec_lo, s1
	s_cbranch_execz .LBB36_690
; %bb.689:
	s_waitcnt lgkmcnt(1)
	v_cmp_gt_f32_e32 vcc_lo, v1, v5
                                        ; implicit-def: $vgpr7
                                        ; implicit-def: $vgpr9
	v_cndmask_b32_e32 v5, v1, v5, vcc_lo
	s_waitcnt lgkmcnt(0)
	v_cmp_lt_f32_e32 vcc_lo, v2, v4
	v_cndmask_b32_e32 v4, v2, v4, vcc_lo
                                        ; implicit-def: $vgpr2
.LBB36_690:
	s_or_saveexec_b32 s1, s1
	v_mov_b32_e32 v8, 1
	s_xor_b32 exec_lo, exec_lo, s1
	s_cbranch_execz .LBB36_694
; %bb.691:
	v_and_b32_e32 v8, 1, v9
	s_mov_b32 s8, exec_lo
	v_cmpx_eq_u32_e32 1, v8
	s_cbranch_execz .LBB36_693
; %bb.692:
	v_mov_b32_e32 v7, 1
	s_waitcnt lgkmcnt(0)
	v_mov_b32_e32 v4, v2
	v_mov_b32_e32 v5, v1
.LBB36_693:
	s_or_b32 exec_lo, exec_lo, s8
	v_mov_b32_e32 v8, v7
.LBB36_694:
	s_or_b32 exec_lo, exec_lo, s1
	v_cmp_gt_u32_e32 vcc_lo, 6, v6
	v_and_b32_e32 v2, 0xff, v8
	s_mov_b32 s1, exec_lo
	v_cndmask_b32_e64 v1, 0, 2, vcc_lo
	v_add_lshl_u32 v6, v1, v3, 2
	ds_bpermute_b32 v1, v6, v2
	s_waitcnt lgkmcnt(2)
	ds_bpermute_b32 v7, v6, v5
	s_waitcnt lgkmcnt(2)
	ds_bpermute_b32 v6, v6, v4
	s_waitcnt lgkmcnt(2)
	v_and_b32_e32 v2, v8, v1
	v_and_b32_e32 v2, 1, v2
	v_cmpx_eq_u32_e32 1, v2
	s_xor_b32 s1, exec_lo, s1
	s_cbranch_execz .LBB36_696
; %bb.695:
	s_waitcnt lgkmcnt(1)
	v_cmp_gt_f32_e32 vcc_lo, v5, v7
                                        ; implicit-def: $vgpr1
                                        ; implicit-def: $vgpr8
	v_cndmask_b32_e32 v7, v5, v7, vcc_lo
	s_waitcnt lgkmcnt(0)
	v_cmp_lt_f32_e32 vcc_lo, v4, v6
                                        ; implicit-def: $vgpr5
	v_cndmask_b32_e32 v6, v4, v6, vcc_lo
                                        ; implicit-def: $vgpr4
.LBB36_696:
	s_or_saveexec_b32 s1, s1
	v_lshlrev_b32_e32 v2, 2, v3
	v_mov_b32_e32 v9, 1
	s_xor_b32 exec_lo, exec_lo, s1
	s_cbranch_execz .LBB36_700
; %bb.697:
	v_and_b32_e32 v3, 1, v8
	s_mov_b32 s8, exec_lo
	v_cmpx_eq_u32_e32 1, v3
	s_cbranch_execz .LBB36_699
; %bb.698:
	v_mov_b32_e32 v1, 1
	s_waitcnt lgkmcnt(0)
	v_mov_b32_e32 v6, v4
	v_mov_b32_e32 v7, v5
.LBB36_699:
	s_or_b32 exec_lo, exec_lo, s8
	v_mov_b32_e32 v9, v1
.LBB36_700:
	s_or_b32 exec_lo, exec_lo, s1
	v_and_b32_e32 v1, 0xff, v9
	v_or_b32_e32 v2, 16, v2
	s_mov_b32 s1, exec_lo
	ds_bpermute_b32 v3, v2, v1
	s_waitcnt lgkmcnt(2)
	ds_bpermute_b32 v1, v2, v7
	s_waitcnt lgkmcnt(2)
	;; [unrolled: 2-line block ×3, first 2 shown]
	v_and_b32_e32 v4, v9, v3
	v_and_b32_e32 v4, 1, v4
	v_cmpx_eq_u32_e32 1, v4
	s_xor_b32 s1, exec_lo, s1
	s_cbranch_execz .LBB36_702
; %bb.701:
	s_waitcnt lgkmcnt(1)
	v_cmp_gt_f32_e32 vcc_lo, v7, v1
                                        ; implicit-def: $vgpr3
                                        ; implicit-def: $vgpr9
	v_cndmask_b32_e32 v1, v7, v1, vcc_lo
	s_waitcnt lgkmcnt(0)
	v_cmp_lt_f32_e32 vcc_lo, v6, v2
                                        ; implicit-def: $vgpr7
	v_cndmask_b32_e32 v2, v6, v2, vcc_lo
                                        ; implicit-def: $vgpr6
.LBB36_702:
	s_or_saveexec_b32 s1, s1
	v_mov_b32_e32 v5, 1
	s_xor_b32 exec_lo, exec_lo, s1
	s_cbranch_execz .LBB36_706
; %bb.703:
	v_and_b32_e32 v4, 1, v9
	s_mov_b32 s8, exec_lo
	v_cmpx_eq_u32_e32 1, v4
	s_cbranch_execz .LBB36_705
; %bb.704:
	v_mov_b32_e32 v3, 1
	s_waitcnt lgkmcnt(0)
	v_mov_b32_e32 v2, v6
	v_mov_b32_e32 v1, v7
.LBB36_705:
	s_or_b32 exec_lo, exec_lo, s8
	v_mov_b32_e32 v5, v3
.LBB36_706:
	s_or_b32 exec_lo, exec_lo, s1
.LBB36_707:
	s_or_b32 exec_lo, exec_lo, s0
	s_branch .LBB36_812
.LBB36_708:
                                        ; implicit-def: $vgpr4
                                        ; implicit-def: $vgpr6
.LBB36_709:
	s_branch .LBB36_1032
.LBB36_710:
                                        ; implicit-def: $vgpr2
                                        ; implicit-def: $vgpr5
	s_cbranch_execz .LBB36_812
; %bb.711:
	v_mov_b32_e32 v5, 0
	s_waitcnt lgkmcnt(0)
	v_mov_b32_e32 v6, 0
	v_mov_b32_e32 v1, 0
	s_sub_i32 s4, s24, s4
	s_mov_b32 s0, exec_lo
	v_cmpx_gt_u32_e64 s4, v0
	s_cbranch_execz .LBB36_713
; %bb.712:
	v_lshlrev_b32_e32 v1, 2, v0
	s_abs_i32 s1, s23
	v_add_nc_u32_e32 v4, s5, v0
	v_cvt_f32_u32_e32 v2, s1
	s_sub_i32 s8, 0, s1
	global_load_dword v1, v1, s[2:3]
	v_sub_nc_u32_e32 v5, 0, v4
	v_rcp_iflag_f32_e32 v2, v2
	v_max_i32_e32 v5, v4, v5
	v_ashrrev_i32_e32 v4, 31, v4
	v_mul_f32_e32 v2, 0x4f7ffffe, v2
	v_cvt_u32_f32_e32 v2, v2
	v_mul_lo_u32 v3, s8, v2
	v_mul_hi_u32 v3, v2, v3
	v_add_nc_u32_e32 v2, v2, v3
	v_mul_hi_u32 v2, v5, v2
	v_mul_lo_u32 v2, v2, s1
	v_sub_nc_u32_e32 v2, v5, v2
	v_subrev_nc_u32_e32 v3, s1, v2
	v_cmp_le_u32_e32 vcc_lo, s1, v2
	v_cndmask_b32_e32 v2, v2, v3, vcc_lo
	v_subrev_nc_u32_e32 v3, s1, v2
	v_cmp_le_u32_e32 vcc_lo, s1, v2
	v_cndmask_b32_e32 v2, v2, v3, vcc_lo
	v_xor_b32_e32 v2, v2, v4
	v_sub_nc_u32_e32 v2, v2, v4
	v_cmp_gt_i32_e32 vcc_lo, s22, v2
	v_cndmask_b32_e64 v5, 0, 1, vcc_lo
.LBB36_713:
	s_or_b32 exec_lo, exec_lo, s0
	v_or_b32_e32 v2, 0x100, v0
	v_mov_b32_e32 v9, 0
	v_cmp_gt_u32_e64 s1, s4, v2
	s_and_saveexec_b32 s0, s1
	s_cbranch_execz .LBB36_715
; %bb.714:
	v_lshlrev_b32_e32 v3, 2, v0
	s_abs_i32 s8, s23
	v_add_nc_u32_e32 v2, s5, v2
	s_sub_i32 s9, 0, s8
	global_load_dword v6, v3, s[2:3] offset:1024
	v_cvt_f32_u32_e32 v3, s8
	v_sub_nc_u32_e32 v7, 0, v2
	v_rcp_iflag_f32_e32 v3, v3
	v_max_i32_e32 v7, v2, v7
	v_ashrrev_i32_e32 v2, 31, v2
	v_mul_f32_e32 v3, 0x4f7ffffe, v3
	v_cvt_u32_f32_e32 v3, v3
	v_mul_lo_u32 v4, s9, v3
	v_mul_hi_u32 v4, v3, v4
	v_add_nc_u32_e32 v3, v3, v4
	v_mul_hi_u32 v3, v7, v3
	v_mul_lo_u32 v3, v3, s8
	v_sub_nc_u32_e32 v3, v7, v3
	v_subrev_nc_u32_e32 v4, s8, v3
	v_cmp_le_u32_e32 vcc_lo, s8, v3
	v_cndmask_b32_e32 v3, v3, v4, vcc_lo
	v_subrev_nc_u32_e32 v4, s8, v3
	v_cmp_le_u32_e32 vcc_lo, s8, v3
	v_cndmask_b32_e32 v3, v3, v4, vcc_lo
	v_xor_b32_e32 v3, v3, v2
	v_sub_nc_u32_e32 v2, v3, v2
	v_cmp_gt_i32_e32 vcc_lo, s22, v2
	v_cndmask_b32_e64 v9, 0, 1, vcc_lo
.LBB36_715:
	s_or_b32 exec_lo, exec_lo, s0
	v_or_b32_e32 v2, 0x200, v0
	v_mov_b32_e32 v8, 0
	v_mov_b32_e32 v4, 0
	;; [unrolled: 1-line block ×3, first 2 shown]
	v_cmp_gt_u32_e64 s0, s4, v2
	s_and_saveexec_b32 s8, s0
	s_cbranch_execz .LBB36_717
; %bb.716:
	v_lshlrev_b32_e32 v3, 2, v2
	s_abs_i32 s9, s23
	v_add_nc_u32_e32 v2, s5, v2
	s_sub_i32 s11, 0, s9
	global_load_dword v7, v3, s[2:3]
	v_cvt_f32_u32_e32 v3, s9
	v_sub_nc_u32_e32 v10, 0, v2
	v_rcp_iflag_f32_e32 v3, v3
	v_max_i32_e32 v10, v2, v10
	v_ashrrev_i32_e32 v2, 31, v2
	v_mul_f32_e32 v3, 0x4f7ffffe, v3
	v_cvt_u32_f32_e32 v3, v3
	v_mul_lo_u32 v8, s11, v3
	v_mul_hi_u32 v8, v3, v8
	v_add_nc_u32_e32 v3, v3, v8
	v_mul_hi_u32 v3, v10, v3
	v_mul_lo_u32 v3, v3, s9
	v_sub_nc_u32_e32 v3, v10, v3
	v_subrev_nc_u32_e32 v8, s9, v3
	v_cmp_le_u32_e32 vcc_lo, s9, v3
	v_cndmask_b32_e32 v3, v3, v8, vcc_lo
	v_subrev_nc_u32_e32 v8, s9, v3
	v_cmp_le_u32_e32 vcc_lo, s9, v3
	v_cndmask_b32_e32 v3, v3, v8, vcc_lo
	v_xor_b32_e32 v3, v3, v2
	v_sub_nc_u32_e32 v2, v3, v2
	v_cmp_gt_i32_e32 vcc_lo, s22, v2
	v_cndmask_b32_e64 v8, 0, 1, vcc_lo
.LBB36_717:
	s_or_b32 exec_lo, exec_lo, s8
	v_or_b32_e32 v2, 0x300, v0
	v_mov_b32_e32 v3, 0
	v_cmp_gt_u32_e32 vcc_lo, s4, v2
	s_and_saveexec_b32 s8, vcc_lo
	s_cbranch_execnz .LBB36_721
; %bb.718:
	s_or_b32 exec_lo, exec_lo, s8
	s_waitcnt vmcnt(0)
	v_mov_b32_e32 v2, v1
	s_and_saveexec_b32 s3, s1
	s_cbranch_execnz .LBB36_722
.LBB36_719:
	s_or_b32 exec_lo, exec_lo, s3
	s_and_saveexec_b32 s2, s0
	s_cbranch_execnz .LBB36_729
.LBB36_720:
	s_or_b32 exec_lo, exec_lo, s2
	s_and_saveexec_b32 s1, vcc_lo
	s_cbranch_execnz .LBB36_736
	s_branch .LBB36_743
.LBB36_721:
	v_lshlrev_b32_e32 v3, 2, v2
	v_add_nc_u32_e32 v2, s5, v2
	global_load_dword v3, v3, s[2:3]
	s_abs_i32 s3, s23
	v_sub_nc_u32_e32 v11, 0, v2
	v_cvt_f32_u32_e32 v4, s3
	s_sub_i32 s2, 0, s3
	v_max_i32_e32 v11, v2, v11
	v_rcp_iflag_f32_e32 v4, v4
	v_ashrrev_i32_e32 v2, 31, v2
	v_mul_f32_e32 v4, 0x4f7ffffe, v4
	v_cvt_u32_f32_e32 v4, v4
	v_mul_lo_u32 v10, s2, v4
	v_mul_hi_u32 v10, v4, v10
	v_add_nc_u32_e32 v4, v4, v10
	v_mul_hi_u32 v4, v11, v4
	v_mul_lo_u32 v4, v4, s3
	v_sub_nc_u32_e32 v4, v11, v4
	v_subrev_nc_u32_e32 v10, s3, v4
	v_cmp_le_u32_e64 s2, s3, v4
	v_cndmask_b32_e64 v4, v4, v10, s2
	v_subrev_nc_u32_e32 v10, s3, v4
	v_cmp_le_u32_e64 s2, s3, v4
	v_cndmask_b32_e64 v4, v4, v10, s2
	v_xor_b32_e32 v4, v4, v2
	v_sub_nc_u32_e32 v2, v4, v2
	v_cmp_gt_i32_e64 s2, s22, v2
	v_cndmask_b32_e64 v4, 0, 1, s2
	s_or_b32 exec_lo, exec_lo, s8
	s_waitcnt vmcnt(1)
	v_mov_b32_e32 v2, v1
	s_and_saveexec_b32 s3, s1
	s_cbranch_execz .LBB36_719
.LBB36_722:
	v_and_b32_e32 v2, 1, v5
	v_and_b32_e32 v5, 1, v9
	v_cmp_eq_u32_e64 s1, 1, v2
	v_cmp_eq_u32_e64 s2, 1, v5
                                        ; implicit-def: $vgpr5
	s_and_b32 s2, s1, s2
	s_xor_b32 s2, s2, -1
	s_and_saveexec_b32 s5, s2
	s_xor_b32 s2, exec_lo, s5
	s_cbranch_execz .LBB36_726
; %bb.723:
	v_mov_b32_e32 v5, 1
	s_xor_b32 s5, s1, -1
	s_and_saveexec_b32 s1, s5
; %bb.724:
	v_and_b32_e32 v5, 0xffff, v9
	v_mov_b32_e32 v1, v6
; %bb.725:
	s_or_b32 exec_lo, exec_lo, s1
                                        ; implicit-def: $vgpr6
.LBB36_726:
	s_or_saveexec_b32 s2, s2
	v_mov_b32_e32 v9, v1
	s_xor_b32 exec_lo, exec_lo, s2
; %bb.727:
	v_cmp_lt_f32_e64 s1, v6, v1
	v_mov_b32_e32 v5, 1
	v_cndmask_b32_e64 v9, v1, v6, s1
	v_cmp_lt_f32_e64 s1, v1, v6
	v_cndmask_b32_e64 v1, v1, v6, s1
; %bb.728:
	s_or_b32 exec_lo, exec_lo, s2
	v_mov_b32_e32 v2, v1
	v_mov_b32_e32 v1, v9
	s_or_b32 exec_lo, exec_lo, s3
	s_and_saveexec_b32 s2, s0
	s_cbranch_execz .LBB36_720
.LBB36_729:
	v_and_b32_e32 v5, 1, v5
	v_and_b32_e32 v6, 1, v8
	v_cmp_eq_u32_e64 s0, 1, v5
	v_cmp_eq_u32_e64 s1, 1, v6
                                        ; implicit-def: $vgpr5
	s_and_b32 s1, s0, s1
	s_xor_b32 s1, s1, -1
	s_and_saveexec_b32 s3, s1
	s_xor_b32 s1, exec_lo, s3
	s_cbranch_execz .LBB36_733
; %bb.730:
	v_mov_b32_e32 v5, 1
	s_xor_b32 s3, s0, -1
	s_and_saveexec_b32 s0, s3
; %bb.731:
	v_and_b32_e32 v5, 0xffff, v8
	v_mov_b32_e32 v2, v7
	v_mov_b32_e32 v1, v7
; %bb.732:
	s_or_b32 exec_lo, exec_lo, s0
                                        ; implicit-def: $vgpr7
.LBB36_733:
	s_andn2_saveexec_b32 s1, s1
; %bb.734:
	v_cmp_lt_f32_e64 s0, v7, v1
	v_mov_b32_e32 v5, 1
	v_cndmask_b32_e64 v1, v1, v7, s0
	v_cmp_lt_f32_e64 s0, v2, v7
	v_cndmask_b32_e64 v2, v2, v7, s0
; %bb.735:
	s_or_b32 exec_lo, exec_lo, s1
	s_or_b32 exec_lo, exec_lo, s2
	s_and_saveexec_b32 s1, vcc_lo
	s_cbranch_execz .LBB36_743
.LBB36_736:
	v_and_b32_e32 v5, 1, v5
	v_and_b32_e32 v6, 1, v4
	v_cmp_eq_u32_e32 vcc_lo, 1, v5
	v_cmp_eq_u32_e64 s0, 1, v6
                                        ; implicit-def: $vgpr5
	s_and_b32 s0, vcc_lo, s0
	s_xor_b32 s0, s0, -1
	s_and_saveexec_b32 s2, s0
	s_xor_b32 s0, exec_lo, s2
	s_cbranch_execz .LBB36_740
; %bb.737:
	v_mov_b32_e32 v5, 1
	s_xor_b32 s3, vcc_lo, -1
	s_and_saveexec_b32 s2, s3
	s_cbranch_execz .LBB36_739
; %bb.738:
	v_and_b32_e32 v5, 0xffff, v4
	s_waitcnt vmcnt(0)
	v_mov_b32_e32 v2, v3
	v_mov_b32_e32 v1, v3
.LBB36_739:
	s_or_b32 exec_lo, exec_lo, s2
                                        ; implicit-def: $vgpr3
.LBB36_740:
	s_andn2_saveexec_b32 s0, s0
	s_cbranch_execz .LBB36_742
; %bb.741:
	s_waitcnt vmcnt(0)
	v_cmp_lt_f32_e32 vcc_lo, v3, v1
	v_mov_b32_e32 v5, 1
	v_cndmask_b32_e32 v1, v1, v3, vcc_lo
	v_cmp_lt_f32_e32 vcc_lo, v2, v3
	v_cndmask_b32_e32 v2, v2, v3, vcc_lo
.LBB36_742:
	s_or_b32 exec_lo, exec_lo, s0
.LBB36_743:
	s_or_b32 exec_lo, exec_lo, s1
	s_waitcnt vmcnt(0)
	v_mbcnt_lo_u32_b32 v3, -1, 0
	s_min_u32 s0, s4, 0x100
	s_mov_b32 s1, exec_lo
	v_cmp_ne_u32_e32 vcc_lo, 31, v3
	v_add_nc_u32_e32 v9, 1, v3
	v_add_co_ci_u32_e64 v4, null, 0, v3, vcc_lo
	v_lshlrev_b32_e32 v4, 2, v4
	ds_bpermute_b32 v8, v4, v5
	ds_bpermute_b32 v6, v4, v1
	;; [unrolled: 1-line block ×3, first 2 shown]
	v_and_b32_e32 v4, 0xe0, v0
	v_sub_nc_u32_e64 v4, s0, v4 clamp
	v_cmpx_lt_u32_e64 v9, v4
	s_xor_b32 s1, exec_lo, s1
	s_cbranch_execz .LBB36_751
; %bb.744:
	s_waitcnt lgkmcnt(2)
	v_and_b32_e32 v9, v8, v5
	s_mov_b32 s2, exec_lo
	v_cmpx_ne_u32_e32 0, v9
	s_xor_b32 s2, exec_lo, s2
	s_cbranch_execz .LBB36_746
; %bb.745:
	s_waitcnt lgkmcnt(1)
	v_cmp_gt_f32_e32 vcc_lo, v1, v6
                                        ; implicit-def: $vgpr8
                                        ; implicit-def: $vgpr5
	v_cndmask_b32_e32 v6, v1, v6, vcc_lo
	s_waitcnt lgkmcnt(0)
	v_cmp_lt_f32_e32 vcc_lo, v2, v7
	v_cndmask_b32_e32 v7, v2, v7, vcc_lo
                                        ; implicit-def: $vgpr2
.LBB36_746:
	s_or_saveexec_b32 s2, s2
	v_mov_b32_e32 v9, 1
	s_xor_b32 exec_lo, exec_lo, s2
	s_cbranch_execz .LBB36_750
; %bb.747:
	v_and_b32_e32 v5, 1, v5
	s_mov_b32 s3, exec_lo
	v_cmpx_eq_u32_e32 1, v5
	s_cbranch_execz .LBB36_749
; %bb.748:
	v_mov_b32_e32 v8, 1
	s_waitcnt lgkmcnt(0)
	v_mov_b32_e32 v7, v2
	v_mov_b32_e32 v6, v1
.LBB36_749:
	s_or_b32 exec_lo, exec_lo, s3
	v_mov_b32_e32 v9, v8
.LBB36_750:
	s_or_b32 exec_lo, exec_lo, s2
	v_and_b32_e32 v5, 0xff, v9
	s_waitcnt lgkmcnt(1)
	v_mov_b32_e32 v1, v6
	s_waitcnt lgkmcnt(0)
	v_mov_b32_e32 v2, v7
.LBB36_751:
	s_or_b32 exec_lo, exec_lo, s1
	v_cmp_gt_u32_e32 vcc_lo, 30, v3
	v_add_nc_u32_e32 v9, 2, v3
	s_mov_b32 s1, exec_lo
	s_waitcnt lgkmcnt(1)
	v_cndmask_b32_e64 v6, 0, 2, vcc_lo
	v_add_lshl_u32 v6, v6, v3, 2
	ds_bpermute_b32 v8, v6, v5
	s_waitcnt lgkmcnt(1)
	ds_bpermute_b32 v7, v6, v1
	ds_bpermute_b32 v6, v6, v2
	v_cmpx_lt_u32_e64 v9, v4
	s_cbranch_execz .LBB36_759
; %bb.752:
	s_waitcnt lgkmcnt(2)
	v_and_b32_e32 v9, v5, v8
	s_mov_b32 s2, exec_lo
	v_and_b32_e32 v9, 1, v9
	v_cmpx_eq_u32_e32 1, v9
	s_xor_b32 s2, exec_lo, s2
	s_cbranch_execz .LBB36_754
; %bb.753:
	s_waitcnt lgkmcnt(1)
	v_cmp_gt_f32_e32 vcc_lo, v1, v7
                                        ; implicit-def: $vgpr8
                                        ; implicit-def: $vgpr5
	v_cndmask_b32_e32 v7, v1, v7, vcc_lo
	s_waitcnt lgkmcnt(0)
	v_cmp_lt_f32_e32 vcc_lo, v2, v6
	v_cndmask_b32_e32 v6, v2, v6, vcc_lo
                                        ; implicit-def: $vgpr2
.LBB36_754:
	s_or_saveexec_b32 s2, s2
	v_mov_b32_e32 v9, 1
	s_xor_b32 exec_lo, exec_lo, s2
	s_cbranch_execz .LBB36_758
; %bb.755:
	v_and_b32_e32 v5, 1, v5
	s_mov_b32 s3, exec_lo
	v_cmpx_eq_u32_e32 1, v5
	s_cbranch_execz .LBB36_757
; %bb.756:
	v_mov_b32_e32 v8, 1
	s_waitcnt lgkmcnt(0)
	v_mov_b32_e32 v6, v2
	v_mov_b32_e32 v7, v1
.LBB36_757:
	s_or_b32 exec_lo, exec_lo, s3
	v_mov_b32_e32 v9, v8
.LBB36_758:
	s_or_b32 exec_lo, exec_lo, s2
	v_and_b32_e32 v5, 0xff, v9
	s_waitcnt lgkmcnt(1)
	v_mov_b32_e32 v1, v7
	s_waitcnt lgkmcnt(0)
	v_mov_b32_e32 v2, v6
.LBB36_759:
	s_or_b32 exec_lo, exec_lo, s1
	v_cmp_gt_u32_e32 vcc_lo, 28, v3
	v_add_nc_u32_e32 v9, 4, v3
	s_mov_b32 s1, exec_lo
	s_waitcnt lgkmcnt(0)
	v_cndmask_b32_e64 v6, 0, 4, vcc_lo
	v_add_lshl_u32 v6, v6, v3, 2
	ds_bpermute_b32 v8, v6, v5
	ds_bpermute_b32 v7, v6, v1
	ds_bpermute_b32 v6, v6, v2
	v_cmpx_lt_u32_e64 v9, v4
	s_cbranch_execz .LBB36_767
; %bb.760:
	s_waitcnt lgkmcnt(2)
	v_and_b32_e32 v9, v5, v8
	s_mov_b32 s2, exec_lo
	v_and_b32_e32 v9, 1, v9
	v_cmpx_eq_u32_e32 1, v9
	s_xor_b32 s2, exec_lo, s2
	s_cbranch_execz .LBB36_762
; %bb.761:
	s_waitcnt lgkmcnt(1)
	v_cmp_gt_f32_e32 vcc_lo, v1, v7
                                        ; implicit-def: $vgpr8
                                        ; implicit-def: $vgpr5
	v_cndmask_b32_e32 v7, v1, v7, vcc_lo
	s_waitcnt lgkmcnt(0)
	v_cmp_lt_f32_e32 vcc_lo, v2, v6
	v_cndmask_b32_e32 v6, v2, v6, vcc_lo
                                        ; implicit-def: $vgpr2
.LBB36_762:
	s_or_saveexec_b32 s2, s2
	v_mov_b32_e32 v9, 1
	s_xor_b32 exec_lo, exec_lo, s2
	s_cbranch_execz .LBB36_766
; %bb.763:
	v_and_b32_e32 v5, 1, v5
	s_mov_b32 s3, exec_lo
	v_cmpx_eq_u32_e32 1, v5
	s_cbranch_execz .LBB36_765
; %bb.764:
	v_mov_b32_e32 v8, 1
	s_waitcnt lgkmcnt(0)
	v_mov_b32_e32 v6, v2
	v_mov_b32_e32 v7, v1
.LBB36_765:
	s_or_b32 exec_lo, exec_lo, s3
	v_mov_b32_e32 v9, v8
.LBB36_766:
	s_or_b32 exec_lo, exec_lo, s2
	v_and_b32_e32 v5, 0xff, v9
	s_waitcnt lgkmcnt(1)
	v_mov_b32_e32 v1, v7
	s_waitcnt lgkmcnt(0)
	v_mov_b32_e32 v2, v6
.LBB36_767:
	s_or_b32 exec_lo, exec_lo, s1
	v_cmp_gt_u32_e32 vcc_lo, 24, v3
	v_add_nc_u32_e32 v9, 8, v3
	s_mov_b32 s1, exec_lo
	s_waitcnt lgkmcnt(0)
	v_cndmask_b32_e64 v6, 0, 8, vcc_lo
	v_add_lshl_u32 v6, v6, v3, 2
	ds_bpermute_b32 v8, v6, v5
	ds_bpermute_b32 v7, v6, v1
	ds_bpermute_b32 v6, v6, v2
	v_cmpx_lt_u32_e64 v9, v4
	s_cbranch_execz .LBB36_775
; %bb.768:
	s_waitcnt lgkmcnt(2)
	v_and_b32_e32 v9, v5, v8
	s_mov_b32 s2, exec_lo
	v_and_b32_e32 v9, 1, v9
	v_cmpx_eq_u32_e32 1, v9
	s_xor_b32 s2, exec_lo, s2
	s_cbranch_execz .LBB36_770
; %bb.769:
	s_waitcnt lgkmcnt(1)
	v_cmp_gt_f32_e32 vcc_lo, v1, v7
                                        ; implicit-def: $vgpr8
                                        ; implicit-def: $vgpr5
	v_cndmask_b32_e32 v7, v1, v7, vcc_lo
	s_waitcnt lgkmcnt(0)
	v_cmp_lt_f32_e32 vcc_lo, v2, v6
	v_cndmask_b32_e32 v6, v2, v6, vcc_lo
                                        ; implicit-def: $vgpr2
.LBB36_770:
	s_or_saveexec_b32 s2, s2
	v_mov_b32_e32 v9, 1
	s_xor_b32 exec_lo, exec_lo, s2
	s_cbranch_execz .LBB36_774
; %bb.771:
	v_and_b32_e32 v5, 1, v5
	s_mov_b32 s3, exec_lo
	v_cmpx_eq_u32_e32 1, v5
	s_cbranch_execz .LBB36_773
; %bb.772:
	v_mov_b32_e32 v8, 1
	s_waitcnt lgkmcnt(0)
	v_mov_b32_e32 v6, v2
	v_mov_b32_e32 v7, v1
.LBB36_773:
	s_or_b32 exec_lo, exec_lo, s3
	v_mov_b32_e32 v9, v8
.LBB36_774:
	s_or_b32 exec_lo, exec_lo, s2
	v_and_b32_e32 v5, 0xff, v9
	s_waitcnt lgkmcnt(1)
	v_mov_b32_e32 v1, v7
	s_waitcnt lgkmcnt(0)
	v_mov_b32_e32 v2, v6
.LBB36_775:
	s_or_b32 exec_lo, exec_lo, s1
	s_waitcnt lgkmcnt(0)
	v_lshlrev_b32_e32 v6, 2, v3
	v_add_nc_u32_e32 v10, 16, v3
	v_or_b32_e32 v8, 64, v6
	v_cmp_lt_u32_e32 vcc_lo, v10, v4
	v_mov_b32_e32 v4, v5
	ds_bpermute_b32 v9, v8, v5
	ds_bpermute_b32 v7, v8, v1
	;; [unrolled: 1-line block ×3, first 2 shown]
	s_and_saveexec_b32 s1, vcc_lo
	s_cbranch_execz .LBB36_783
; %bb.776:
	s_waitcnt lgkmcnt(2)
	v_and_b32_e32 v4, v5, v9
	s_mov_b32 s2, exec_lo
	v_and_b32_e32 v4, 1, v4
	v_cmpx_eq_u32_e32 1, v4
	s_xor_b32 s2, exec_lo, s2
	s_cbranch_execz .LBB36_778
; %bb.777:
	s_waitcnt lgkmcnt(1)
	v_cmp_gt_f32_e32 vcc_lo, v1, v7
                                        ; implicit-def: $vgpr9
                                        ; implicit-def: $vgpr5
	v_cndmask_b32_e32 v7, v1, v7, vcc_lo
	s_waitcnt lgkmcnt(0)
	v_cmp_lt_f32_e32 vcc_lo, v2, v8
	v_cndmask_b32_e32 v8, v2, v8, vcc_lo
                                        ; implicit-def: $vgpr2
.LBB36_778:
	s_or_saveexec_b32 s2, s2
	v_mov_b32_e32 v4, 1
	s_xor_b32 exec_lo, exec_lo, s2
	s_cbranch_execz .LBB36_782
; %bb.779:
	v_and_b32_e32 v4, 1, v5
	s_mov_b32 s3, exec_lo
	v_cmpx_eq_u32_e32 1, v4
	s_cbranch_execz .LBB36_781
; %bb.780:
	v_mov_b32_e32 v9, 1
	s_waitcnt lgkmcnt(0)
	v_mov_b32_e32 v8, v2
	v_mov_b32_e32 v7, v1
.LBB36_781:
	s_or_b32 exec_lo, exec_lo, s3
	v_mov_b32_e32 v4, v9
.LBB36_782:
	s_or_b32 exec_lo, exec_lo, s2
	v_and_b32_e32 v5, 0xff, v4
	s_waitcnt lgkmcnt(0)
	v_mov_b32_e32 v2, v8
	v_mov_b32_e32 v1, v7
.LBB36_783:
	s_or_b32 exec_lo, exec_lo, s1
	s_mov_b32 s1, exec_lo
	v_cmpx_eq_u32_e32 0, v3
	s_cbranch_execz .LBB36_785
; %bb.784:
	s_waitcnt lgkmcnt(1)
	v_lshrrev_b32_e32 v7, 5, v0
	v_mul_u32_u24_e32 v7, 12, v7
	ds_write_b8 v7, v4
	ds_write2_b32 v7, v1, v2 offset0:1 offset1:2
.LBB36_785:
	s_or_b32 exec_lo, exec_lo, s1
	s_mov_b32 s1, exec_lo
	s_waitcnt lgkmcnt(0)
	s_barrier
	buffer_gl0_inv
	v_cmpx_gt_u32_e32 8, v0
	s_cbranch_execz .LBB36_811
; %bb.786:
	v_mul_u32_u24_e32 v1, 12, v3
	v_and_b32_e32 v4, 7, v3
	s_add_i32 s0, s0, 31
	ds_read_u8 v10, v1
	ds_read2_b32 v[1:2], v1 offset0:1 offset1:2
	v_cmp_ne_u32_e32 vcc_lo, 7, v4
	v_add_nc_u32_e32 v11, 1, v4
	s_lshr_b32 s0, s0, 5
	v_add_co_ci_u32_e64 v5, null, 0, v3, vcc_lo
	v_cmp_gt_u32_e32 vcc_lo, s0, v11
	v_lshlrev_b32_e32 v8, 2, v5
	s_waitcnt lgkmcnt(1)
	v_and_b32_e32 v5, 0xff, v10
	s_waitcnt lgkmcnt(0)
	ds_bpermute_b32 v7, v8, v1
	v_mov_b32_e32 v11, v1
	v_mov_b32_e32 v12, v2
	ds_bpermute_b32 v9, v8, v5
	ds_bpermute_b32 v8, v8, v2
	s_and_saveexec_b32 s2, vcc_lo
	s_cbranch_execz .LBB36_794
; %bb.787:
	s_waitcnt lgkmcnt(1)
	v_and_b32_e32 v5, v5, v9
	s_mov_b32 s3, exec_lo
	v_and_b32_e32 v5, 1, v5
	v_cmpx_eq_u32_e32 1, v5
	s_xor_b32 s3, exec_lo, s3
	s_cbranch_execz .LBB36_789
; %bb.788:
	v_cmp_gt_f32_e32 vcc_lo, v1, v7
                                        ; implicit-def: $vgpr9
                                        ; implicit-def: $vgpr10
	v_cndmask_b32_e32 v7, v1, v7, vcc_lo
	s_waitcnt lgkmcnt(0)
	v_cmp_lt_f32_e32 vcc_lo, v2, v8
	v_cndmask_b32_e32 v8, v2, v8, vcc_lo
                                        ; implicit-def: $vgpr2
.LBB36_789:
	s_or_saveexec_b32 s3, s3
	v_mov_b32_e32 v5, 1
	s_xor_b32 exec_lo, exec_lo, s3
	s_cbranch_execz .LBB36_793
; %bb.790:
	v_and_b32_e32 v5, 1, v10
	s_mov_b32 s4, exec_lo
	v_cmpx_eq_u32_e32 1, v5
	s_cbranch_execz .LBB36_792
; %bb.791:
	v_mov_b32_e32 v9, 1
	s_waitcnt lgkmcnt(0)
	v_mov_b32_e32 v8, v2
	v_mov_b32_e32 v7, v1
.LBB36_792:
	s_or_b32 exec_lo, exec_lo, s4
	v_mov_b32_e32 v5, v9
.LBB36_793:
	s_or_b32 exec_lo, exec_lo, s3
	v_and_b32_e32 v5, 0xff, v5
	v_mov_b32_e32 v11, v7
	s_waitcnt lgkmcnt(0)
	v_mov_b32_e32 v12, v8
	v_mov_b32_e32 v2, v8
	;; [unrolled: 1-line block ×3, first 2 shown]
.LBB36_794:
	s_or_b32 exec_lo, exec_lo, s2
	v_cmp_gt_u32_e32 vcc_lo, 6, v4
	s_waitcnt lgkmcnt(1)
	v_add_nc_u32_e32 v9, 2, v4
	s_mov_b32 s2, exec_lo
	v_cndmask_b32_e64 v7, 0, 2, vcc_lo
	v_add_lshl_u32 v7, v7, v3, 2
	s_waitcnt lgkmcnt(0)
	ds_bpermute_b32 v8, v7, v5
	ds_bpermute_b32 v3, v7, v11
	;; [unrolled: 1-line block ×3, first 2 shown]
	v_cmpx_gt_u32_e64 s0, v9
	s_cbranch_execz .LBB36_802
; %bb.795:
	s_waitcnt lgkmcnt(2)
	v_and_b32_e32 v9, v5, v8
	s_mov_b32 s3, exec_lo
	v_and_b32_e32 v9, 1, v9
	v_cmpx_eq_u32_e32 1, v9
	s_xor_b32 s3, exec_lo, s3
	s_cbranch_execz .LBB36_797
; %bb.796:
	s_waitcnt lgkmcnt(1)
	v_cmp_gt_f32_e32 vcc_lo, v1, v3
                                        ; implicit-def: $vgpr8
                                        ; implicit-def: $vgpr5
	v_cndmask_b32_e32 v3, v1, v3, vcc_lo
	s_waitcnt lgkmcnt(0)
	v_cmp_lt_f32_e32 vcc_lo, v2, v7
	v_cndmask_b32_e32 v7, v2, v7, vcc_lo
                                        ; implicit-def: $vgpr2
.LBB36_797:
	s_or_saveexec_b32 s3, s3
	v_mov_b32_e32 v9, 1
	s_xor_b32 exec_lo, exec_lo, s3
	s_cbranch_execz .LBB36_801
; %bb.798:
	v_and_b32_e32 v5, 1, v5
	s_mov_b32 s4, exec_lo
	v_cmpx_eq_u32_e32 1, v5
	s_cbranch_execz .LBB36_800
; %bb.799:
	v_mov_b32_e32 v8, 1
	s_waitcnt lgkmcnt(0)
	v_mov_b32_e32 v7, v2
	v_mov_b32_e32 v3, v1
.LBB36_800:
	s_or_b32 exec_lo, exec_lo, s4
	v_mov_b32_e32 v9, v8
.LBB36_801:
	s_or_b32 exec_lo, exec_lo, s3
	v_and_b32_e32 v5, 0xff, v9
	s_waitcnt lgkmcnt(1)
	v_mov_b32_e32 v11, v3
	s_waitcnt lgkmcnt(0)
	v_mov_b32_e32 v12, v7
	v_mov_b32_e32 v2, v7
	;; [unrolled: 1-line block ×3, first 2 shown]
.LBB36_802:
	s_or_b32 exec_lo, exec_lo, s2
	v_or_b32_e32 v6, 16, v6
	v_add_nc_u32_e32 v4, 4, v4
	s_waitcnt lgkmcnt(0)
	ds_bpermute_b32 v7, v6, v5
	ds_bpermute_b32 v3, v6, v11
	;; [unrolled: 1-line block ×3, first 2 shown]
	v_cmp_gt_u32_e32 vcc_lo, s0, v4
	s_and_saveexec_b32 s0, vcc_lo
	s_cbranch_execz .LBB36_810
; %bb.803:
	s_waitcnt lgkmcnt(2)
	v_and_b32_e32 v4, v5, v7
	s_mov_b32 s2, exec_lo
	v_and_b32_e32 v4, 1, v4
	v_cmpx_eq_u32_e32 1, v4
	s_xor_b32 s2, exec_lo, s2
	s_cbranch_execz .LBB36_805
; %bb.804:
	s_waitcnt lgkmcnt(1)
	v_cmp_gt_f32_e32 vcc_lo, v1, v3
                                        ; implicit-def: $vgpr7
                                        ; implicit-def: $vgpr5
	v_cndmask_b32_e32 v3, v1, v3, vcc_lo
	s_waitcnt lgkmcnt(0)
	v_cmp_lt_f32_e32 vcc_lo, v2, v6
	v_cndmask_b32_e32 v6, v2, v6, vcc_lo
                                        ; implicit-def: $vgpr2
.LBB36_805:
	s_or_saveexec_b32 s2, s2
	v_mov_b32_e32 v4, 1
	s_xor_b32 exec_lo, exec_lo, s2
	s_cbranch_execz .LBB36_809
; %bb.806:
	v_and_b32_e32 v4, 1, v5
	s_mov_b32 s3, exec_lo
	v_cmpx_eq_u32_e32 1, v4
	s_cbranch_execz .LBB36_808
; %bb.807:
	v_mov_b32_e32 v7, 1
	s_waitcnt lgkmcnt(0)
	v_mov_b32_e32 v6, v2
	v_mov_b32_e32 v3, v1
.LBB36_808:
	s_or_b32 exec_lo, exec_lo, s3
	v_mov_b32_e32 v4, v7
.LBB36_809:
	s_or_b32 exec_lo, exec_lo, s2
	s_waitcnt lgkmcnt(0)
	v_mov_b32_e32 v2, v6
	v_mov_b32_e32 v1, v3
	v_mov_b32_e32 v5, v4
.LBB36_810:
	s_or_b32 exec_lo, exec_lo, s0
.LBB36_811:
	s_or_b32 exec_lo, exec_lo, s1
.LBB36_812:
	s_mov_b32 s0, exec_lo
                                        ; implicit-def: $vgpr4
                                        ; implicit-def: $vgpr6
	v_cmpx_eq_u32_e32 0, v0
	s_xor_b32 s0, exec_lo, s0
	s_cbranch_execz .LBB36_820
; %bb.813:
	v_mov_b32_e32 v4, s19
	s_waitcnt lgkmcnt(1)
	v_mov_b32_e32 v3, s18
	s_waitcnt lgkmcnt(0)
	v_mov_b32_e32 v6, s30
	s_cmp_eq_u64 s[24:25], 0
	s_cbranch_scc1 .LBB36_819
; %bb.814:
	v_and_b32_e32 v3, 1, v5
	s_bitcmp1_b32 s30, 0
                                        ; implicit-def: $vgpr6
	s_cselect_b32 s1, -1, 0
	v_cmp_eq_u32_e32 vcc_lo, 1, v3
                                        ; implicit-def: $vgpr4
	s_and_b32 s2, s1, vcc_lo
	s_xor_b32 s2, s2, -1
	s_and_saveexec_b32 s3, s2
	s_xor_b32 s2, exec_lo, s3
; %bb.815:
	v_cndmask_b32_e64 v6, v5, 1, s1
	v_cndmask_b32_e64 v3, v1, s18, s1
	;; [unrolled: 1-line block ×3, first 2 shown]
                                        ; implicit-def: $vgpr1
; %bb.816:
	s_andn2_saveexec_b32 s1, s2
; %bb.817:
	v_cmp_gt_f32_e32 vcc_lo, s18, v1
	v_mov_b32_e32 v6, 1
	v_cndmask_b32_e32 v3, s18, v1, vcc_lo
	v_cmp_lt_f32_e32 vcc_lo, s19, v2
	v_cndmask_b32_e32 v4, s19, v2, vcc_lo
; %bb.818:
	s_or_b32 exec_lo, exec_lo, s1
.LBB36_819:
	s_or_b32 s10, s10, exec_lo
.LBB36_820:
	s_or_b32 exec_lo, exec_lo, s0
	s_branch .LBB36_1032
.LBB36_821:
	s_cmp_gt_i32 s28, 1
	s_cbranch_scc0 .LBB36_883
; %bb.822:
	s_cmp_eq_u32 s28, 2
	s_cbranch_scc0 .LBB36_884
; %bb.823:
	s_mov_b32 s7, 0
	s_lshl_b32 s4, s6, 9
	s_mov_b32 s5, s7
	s_lshr_b64 s[0:1], s[24:25], 9
	s_lshl_b64 s[2:3], s[4:5], 2
	s_add_i32 s5, s29, s4
	s_add_u32 s2, s20, s2
	s_addc_u32 s3, s21, s3
	s_cmp_lg_u64 s[0:1], s[6:7]
	s_cbranch_scc0 .LBB36_885
; %bb.824:
	s_waitcnt lgkmcnt(0)
	v_lshlrev_b32_e32 v2, 2, v0
	s_abs_i32 s0, s23
	v_add_nc_u32_e32 v5, s5, v0
	v_cvt_f32_u32_e32 v3, s0
	s_sub_i32 s1, 0, s0
	s_clause 0x1
	global_load_dword v1, v2, s[2:3]
	global_load_dword v2, v2, s[2:3] offset:1024
	v_sub_nc_u32_e32 v6, 0, v5
	v_rcp_iflag_f32_e32 v3, v3
	v_add_nc_u32_e32 v7, 0x100, v5
	v_sub_nc_u32_e32 v8, 0xffffff00, v5
	v_max_i32_e32 v6, v5, v6
	v_ashrrev_i32_e32 v5, 31, v5
	v_mul_f32_e32 v3, 0x4f7ffffe, v3
	v_cvt_u32_f32_e32 v3, v3
	v_mul_lo_u32 v4, s1, v3
	v_mul_hi_u32 v4, v3, v4
	v_add_nc_u32_e32 v3, v3, v4
	v_max_i32_e32 v4, v7, v8
	v_mul_hi_u32 v8, v6, v3
	v_mul_hi_u32 v3, v4, v3
	v_mul_lo_u32 v8, v8, s0
	v_mul_lo_u32 v3, v3, s0
	v_sub_nc_u32_e32 v6, v6, v8
	v_sub_nc_u32_e32 v3, v4, v3
	v_subrev_nc_u32_e32 v4, s0, v6
	v_cmp_le_u32_e32 vcc_lo, s0, v6
	v_subrev_nc_u32_e32 v8, s0, v3
	v_cndmask_b32_e32 v4, v6, v4, vcc_lo
	v_cmp_le_u32_e32 vcc_lo, s0, v3
	v_subrev_nc_u32_e32 v6, s0, v4
	v_cndmask_b32_e32 v3, v3, v8, vcc_lo
	;; [unrolled: 3-line block ×3, first 2 shown]
	v_cmp_le_u32_e32 vcc_lo, s0, v3
	v_ashrrev_i32_e32 v6, 31, v7
	v_xor_b32_e32 v4, v4, v5
	v_cndmask_b32_e32 v3, v3, v8, vcc_lo
	v_sub_nc_u32_e32 v4, v4, v5
	v_xor_b32_e32 v3, v3, v6
	v_cmp_le_i32_e64 s0, s22, v4
	v_sub_nc_u32_e32 v3, v3, v6
	v_cmp_le_i32_e64 s1, s22, v3
	v_cmp_gt_i32_e32 vcc_lo, s22, v3
                                        ; implicit-def: $vgpr3
	s_or_b32 s1, s0, s1
	s_and_saveexec_b32 s8, s1
	s_xor_b32 s1, exec_lo, s8
	s_cbranch_execz .LBB36_828
; %bb.825:
	v_mov_b32_e32 v3, 1
	s_and_saveexec_b32 s8, s0
	s_cbranch_execz .LBB36_827
; %bb.826:
	v_cndmask_b32_e64 v3, 0, 1, vcc_lo
	s_waitcnt vmcnt(0)
	v_mov_b32_e32 v1, v2
.LBB36_827:
	s_or_b32 exec_lo, exec_lo, s8
                                        ; implicit-def: $vgpr2
.LBB36_828:
	s_or_saveexec_b32 s0, s1
	s_waitcnt vmcnt(1)
	v_mov_b32_e32 v4, v1
	s_xor_b32 exec_lo, exec_lo, s0
	s_cbranch_execz .LBB36_830
; %bb.829:
	s_waitcnt vmcnt(0)
	v_cmp_lt_f32_e32 vcc_lo, v2, v1
	v_mov_b32_e32 v3, 1
	v_cndmask_b32_e32 v5, v1, v2, vcc_lo
	v_cmp_lt_f32_e32 vcc_lo, v1, v2
	v_cndmask_b32_e32 v4, v1, v2, vcc_lo
	v_mov_b32_e32 v1, v5
.LBB36_830:
	s_or_b32 exec_lo, exec_lo, s0
	v_and_b32_e32 v6, 0xff, v3
	v_and_b32_e32 v3, 1, v3
                                        ; implicit-def: $vgpr5
	s_waitcnt vmcnt(0)
	v_mov_b32_dpp v2, v6 quad_perm:[1,0,3,2] row_mask:0xf bank_mask:0xf
	v_cmp_eq_u32_e64 s0, 1, v3
	v_mov_b32_dpp v3, v4 quad_perm:[1,0,3,2] row_mask:0xf bank_mask:0xf
	v_and_b32_e32 v2, 1, v2
	v_cmp_eq_u32_e32 vcc_lo, 1, v2
	v_mov_b32_dpp v2, v1 quad_perm:[1,0,3,2] row_mask:0xf bank_mask:0xf
	s_and_b32 s0, vcc_lo, s0
	s_xor_b32 s0, s0, -1
	s_and_saveexec_b32 s1, s0
	s_xor_b32 s0, exec_lo, s1
	s_cbranch_execz .LBB36_834
; %bb.831:
	v_mov_b32_e32 v5, 1
	s_xor_b32 s8, vcc_lo, -1
	s_and_saveexec_b32 s1, s8
; %bb.832:
	v_mov_b32_e32 v3, v4
	v_mov_b32_e32 v2, v1
	v_mov_b32_e32 v5, v6
; %bb.833:
	s_or_b32 exec_lo, exec_lo, s1
                                        ; implicit-def: $vgpr1
                                        ; implicit-def: $vgpr4
.LBB36_834:
	s_andn2_saveexec_b32 s0, s0
; %bb.835:
	v_cmp_lt_f32_e32 vcc_lo, v1, v2
	v_mov_b32_e32 v5, 1
	v_cndmask_b32_e32 v2, v2, v1, vcc_lo
	v_cmp_gt_f32_e32 vcc_lo, v4, v3
	v_cndmask_b32_e32 v3, v3, v4, vcc_lo
; %bb.836:
	s_or_b32 exec_lo, exec_lo, s0
	v_mov_b32_dpp v1, v5 quad_perm:[2,3,0,1] row_mask:0xf bank_mask:0xf
	v_and_b32_e32 v4, v1, v5
	v_and_b32_e32 v6, 1, v1
	v_mov_b32_dpp v1, v2 quad_perm:[2,3,0,1] row_mask:0xf bank_mask:0xf
	v_and_b32_e32 v7, 1, v4
	v_mov_b32_dpp v4, v3 quad_perm:[2,3,0,1] row_mask:0xf bank_mask:0xf
	v_cmp_ne_u32_e32 vcc_lo, 1, v6
                                        ; implicit-def: $vgpr6
	v_cmp_ne_u32_e64 s0, 1, v7
	s_and_saveexec_b32 s1, s0
	s_xor_b32 s0, exec_lo, s1
	s_cbranch_execz .LBB36_840
; %bb.837:
	v_mov_b32_e32 v6, 1
	s_and_saveexec_b32 s1, vcc_lo
; %bb.838:
	v_mov_b32_e32 v4, v3
	v_mov_b32_e32 v1, v2
	;; [unrolled: 1-line block ×3, first 2 shown]
; %bb.839:
	s_or_b32 exec_lo, exec_lo, s1
                                        ; implicit-def: $vgpr2
                                        ; implicit-def: $vgpr3
.LBB36_840:
	s_andn2_saveexec_b32 s0, s0
; %bb.841:
	v_cmp_lt_f32_e32 vcc_lo, v2, v1
	v_mov_b32_e32 v6, 1
	v_cndmask_b32_e32 v1, v1, v2, vcc_lo
	v_cmp_gt_f32_e32 vcc_lo, v3, v4
	v_cndmask_b32_e32 v4, v4, v3, vcc_lo
; %bb.842:
	s_or_b32 exec_lo, exec_lo, s0
	v_mov_b32_dpp v2, v6 row_ror:4 row_mask:0xf bank_mask:0xf
	v_and_b32_e32 v3, v2, v6
	v_and_b32_e32 v5, 1, v2
	v_mov_b32_dpp v2, v1 row_ror:4 row_mask:0xf bank_mask:0xf
	v_and_b32_e32 v7, 1, v3
	v_mov_b32_dpp v3, v4 row_ror:4 row_mask:0xf bank_mask:0xf
	v_cmp_ne_u32_e32 vcc_lo, 1, v5
                                        ; implicit-def: $vgpr5
	v_cmp_ne_u32_e64 s0, 1, v7
	s_and_saveexec_b32 s1, s0
	s_xor_b32 s0, exec_lo, s1
	s_cbranch_execz .LBB36_846
; %bb.843:
	v_mov_b32_e32 v5, 1
	s_and_saveexec_b32 s1, vcc_lo
; %bb.844:
	v_mov_b32_e32 v3, v4
	v_mov_b32_e32 v2, v1
	;; [unrolled: 1-line block ×3, first 2 shown]
; %bb.845:
	s_or_b32 exec_lo, exec_lo, s1
                                        ; implicit-def: $vgpr1
                                        ; implicit-def: $vgpr4
.LBB36_846:
	s_andn2_saveexec_b32 s0, s0
; %bb.847:
	v_cmp_lt_f32_e32 vcc_lo, v1, v2
	v_mov_b32_e32 v5, 1
	v_cndmask_b32_e32 v2, v2, v1, vcc_lo
	v_cmp_gt_f32_e32 vcc_lo, v4, v3
	v_cndmask_b32_e32 v3, v3, v4, vcc_lo
; %bb.848:
	s_or_b32 exec_lo, exec_lo, s0
	v_mov_b32_dpp v1, v5 row_ror:8 row_mask:0xf bank_mask:0xf
	v_and_b32_e32 v4, v1, v5
	v_and_b32_e32 v6, 1, v1
	v_mov_b32_dpp v1, v2 row_ror:8 row_mask:0xf bank_mask:0xf
	v_and_b32_e32 v7, 1, v4
	v_mov_b32_dpp v4, v3 row_ror:8 row_mask:0xf bank_mask:0xf
	v_cmp_ne_u32_e32 vcc_lo, 1, v6
                                        ; implicit-def: $vgpr6
	v_cmp_ne_u32_e64 s0, 1, v7
	s_and_saveexec_b32 s1, s0
	s_xor_b32 s0, exec_lo, s1
	s_cbranch_execz .LBB36_852
; %bb.849:
	v_mov_b32_e32 v6, 1
	s_and_saveexec_b32 s1, vcc_lo
; %bb.850:
	v_mov_b32_e32 v4, v3
	v_mov_b32_e32 v1, v2
	;; [unrolled: 1-line block ×3, first 2 shown]
; %bb.851:
	s_or_b32 exec_lo, exec_lo, s1
                                        ; implicit-def: $vgpr2
                                        ; implicit-def: $vgpr3
.LBB36_852:
	s_andn2_saveexec_b32 s0, s0
; %bb.853:
	v_cmp_lt_f32_e32 vcc_lo, v2, v1
	v_mov_b32_e32 v6, 1
	v_cndmask_b32_e32 v1, v1, v2, vcc_lo
	v_cmp_gt_f32_e32 vcc_lo, v3, v4
	v_cndmask_b32_e32 v4, v4, v3, vcc_lo
; %bb.854:
	s_or_b32 exec_lo, exec_lo, s0
	ds_swizzle_b32 v5, v6 offset:swizzle(BROADCAST,32,15)
	ds_swizzle_b32 v3, v1 offset:swizzle(BROADCAST,32,15)
	;; [unrolled: 1-line block ×3, first 2 shown]
	s_waitcnt lgkmcnt(2)
	v_and_b32_e32 v7, v5, v6
	v_and_b32_e32 v5, 1, v5
	;; [unrolled: 1-line block ×3, first 2 shown]
	v_cmp_ne_u32_e32 vcc_lo, 1, v5
                                        ; implicit-def: $vgpr5
	v_cmp_ne_u32_e64 s0, 1, v7
	s_and_saveexec_b32 s1, s0
	s_xor_b32 s0, exec_lo, s1
	s_cbranch_execz .LBB36_858
; %bb.855:
	v_mov_b32_e32 v5, 1
	s_and_saveexec_b32 s1, vcc_lo
	s_cbranch_execz .LBB36_857
; %bb.856:
	s_waitcnt lgkmcnt(0)
	v_mov_b32_e32 v2, v4
	v_mov_b32_e32 v3, v1
	v_mov_b32_e32 v5, v6
.LBB36_857:
	s_or_b32 exec_lo, exec_lo, s1
                                        ; implicit-def: $vgpr1
                                        ; implicit-def: $vgpr4
.LBB36_858:
	s_andn2_saveexec_b32 s0, s0
	s_cbranch_execz .LBB36_860
; %bb.859:
	s_waitcnt lgkmcnt(1)
	v_cmp_lt_f32_e32 vcc_lo, v1, v3
	v_mov_b32_e32 v5, 1
	v_cndmask_b32_e32 v3, v3, v1, vcc_lo
	s_waitcnt lgkmcnt(0)
	v_cmp_gt_f32_e32 vcc_lo, v4, v2
	v_cndmask_b32_e32 v2, v2, v4, vcc_lo
.LBB36_860:
	s_or_b32 exec_lo, exec_lo, s0
	v_mov_b32_e32 v4, 0
	s_mov_b32 s0, exec_lo
	ds_bpermute_b32 v5, v4, v5 offset:124
	s_waitcnt lgkmcnt(2)
	ds_bpermute_b32 v1, v4, v3 offset:124
	s_waitcnt lgkmcnt(2)
	ds_bpermute_b32 v2, v4, v2 offset:124
	v_mbcnt_lo_u32_b32 v3, -1, 0
	v_cmpx_eq_u32_e32 0, v3
	s_cbranch_execz .LBB36_862
; %bb.861:
	v_lshrrev_b32_e32 v4, 5, v0
	v_mul_u32_u24_e32 v4, 12, v4
	s_waitcnt lgkmcnt(2)
	ds_write_b8 v4, v5 offset:288
	s_waitcnt lgkmcnt(1)
	ds_write2_b32 v4, v1, v2 offset0:73 offset1:74
.LBB36_862:
	s_or_b32 exec_lo, exec_lo, s0
	s_mov_b32 s0, exec_lo
	s_waitcnt lgkmcnt(0)
	s_barrier
	buffer_gl0_inv
	v_cmpx_gt_u32_e32 32, v0
	s_cbranch_execz .LBB36_882
; %bb.863:
	v_and_b32_e32 v6, 7, v3
	s_mov_b32 s1, exec_lo
	v_mul_u32_u24_e32 v1, 12, v6
	v_cmp_ne_u32_e32 vcc_lo, 7, v6
	ds_read_u8 v9, v1 offset:288
	v_add_co_ci_u32_e64 v4, null, 0, v3, vcc_lo
	ds_read2_b32 v[1:2], v1 offset0:73 offset1:74
	v_lshlrev_b32_e32 v4, 2, v4
	s_waitcnt lgkmcnt(1)
	v_and_b32_e32 v5, 0xff, v9
	ds_bpermute_b32 v7, v4, v5
	s_waitcnt lgkmcnt(1)
	ds_bpermute_b32 v5, v4, v1
	ds_bpermute_b32 v4, v4, v2
	s_waitcnt lgkmcnt(2)
	v_and_b32_e32 v8, v9, v7
	v_and_b32_e32 v8, 1, v8
	v_cmpx_eq_u32_e32 1, v8
	s_xor_b32 s1, exec_lo, s1
	s_cbranch_execz .LBB36_865
; %bb.864:
	s_waitcnt lgkmcnt(1)
	v_cmp_gt_f32_e32 vcc_lo, v1, v5
                                        ; implicit-def: $vgpr7
                                        ; implicit-def: $vgpr9
	v_cndmask_b32_e32 v5, v1, v5, vcc_lo
	s_waitcnt lgkmcnt(0)
	v_cmp_lt_f32_e32 vcc_lo, v2, v4
	v_cndmask_b32_e32 v4, v2, v4, vcc_lo
                                        ; implicit-def: $vgpr2
.LBB36_865:
	s_or_saveexec_b32 s1, s1
	v_mov_b32_e32 v8, 1
	s_xor_b32 exec_lo, exec_lo, s1
	s_cbranch_execz .LBB36_869
; %bb.866:
	v_and_b32_e32 v8, 1, v9
	s_mov_b32 s8, exec_lo
	v_cmpx_eq_u32_e32 1, v8
	s_cbranch_execz .LBB36_868
; %bb.867:
	v_mov_b32_e32 v7, 1
	s_waitcnt lgkmcnt(0)
	v_mov_b32_e32 v4, v2
	v_mov_b32_e32 v5, v1
.LBB36_868:
	s_or_b32 exec_lo, exec_lo, s8
	v_mov_b32_e32 v8, v7
.LBB36_869:
	s_or_b32 exec_lo, exec_lo, s1
	v_cmp_gt_u32_e32 vcc_lo, 6, v6
	v_and_b32_e32 v2, 0xff, v8
	s_mov_b32 s1, exec_lo
	v_cndmask_b32_e64 v1, 0, 2, vcc_lo
	v_add_lshl_u32 v6, v1, v3, 2
	ds_bpermute_b32 v1, v6, v2
	s_waitcnt lgkmcnt(2)
	ds_bpermute_b32 v7, v6, v5
	s_waitcnt lgkmcnt(2)
	;; [unrolled: 2-line block ×3, first 2 shown]
	v_and_b32_e32 v2, v8, v1
	v_and_b32_e32 v2, 1, v2
	v_cmpx_eq_u32_e32 1, v2
	s_xor_b32 s1, exec_lo, s1
	s_cbranch_execz .LBB36_871
; %bb.870:
	s_waitcnt lgkmcnt(1)
	v_cmp_gt_f32_e32 vcc_lo, v5, v7
                                        ; implicit-def: $vgpr1
                                        ; implicit-def: $vgpr8
	v_cndmask_b32_e32 v7, v5, v7, vcc_lo
	s_waitcnt lgkmcnt(0)
	v_cmp_lt_f32_e32 vcc_lo, v4, v6
                                        ; implicit-def: $vgpr5
	v_cndmask_b32_e32 v6, v4, v6, vcc_lo
                                        ; implicit-def: $vgpr4
.LBB36_871:
	s_or_saveexec_b32 s1, s1
	v_lshlrev_b32_e32 v2, 2, v3
	v_mov_b32_e32 v9, 1
	s_xor_b32 exec_lo, exec_lo, s1
	s_cbranch_execz .LBB36_875
; %bb.872:
	v_and_b32_e32 v3, 1, v8
	s_mov_b32 s8, exec_lo
	v_cmpx_eq_u32_e32 1, v3
	s_cbranch_execz .LBB36_874
; %bb.873:
	v_mov_b32_e32 v1, 1
	s_waitcnt lgkmcnt(0)
	v_mov_b32_e32 v6, v4
	v_mov_b32_e32 v7, v5
.LBB36_874:
	s_or_b32 exec_lo, exec_lo, s8
	v_mov_b32_e32 v9, v1
.LBB36_875:
	s_or_b32 exec_lo, exec_lo, s1
	v_and_b32_e32 v1, 0xff, v9
	v_or_b32_e32 v2, 16, v2
	s_mov_b32 s1, exec_lo
	ds_bpermute_b32 v3, v2, v1
	s_waitcnt lgkmcnt(2)
	ds_bpermute_b32 v1, v2, v7
	s_waitcnt lgkmcnt(2)
	;; [unrolled: 2-line block ×3, first 2 shown]
	v_and_b32_e32 v4, v9, v3
	v_and_b32_e32 v4, 1, v4
	v_cmpx_eq_u32_e32 1, v4
	s_xor_b32 s1, exec_lo, s1
	s_cbranch_execz .LBB36_877
; %bb.876:
	s_waitcnt lgkmcnt(1)
	v_cmp_gt_f32_e32 vcc_lo, v7, v1
                                        ; implicit-def: $vgpr3
                                        ; implicit-def: $vgpr9
	v_cndmask_b32_e32 v1, v7, v1, vcc_lo
	s_waitcnt lgkmcnt(0)
	v_cmp_lt_f32_e32 vcc_lo, v6, v2
                                        ; implicit-def: $vgpr7
	v_cndmask_b32_e32 v2, v6, v2, vcc_lo
                                        ; implicit-def: $vgpr6
.LBB36_877:
	s_or_saveexec_b32 s1, s1
	v_mov_b32_e32 v5, 1
	s_xor_b32 exec_lo, exec_lo, s1
	s_cbranch_execz .LBB36_881
; %bb.878:
	v_and_b32_e32 v4, 1, v9
	s_mov_b32 s8, exec_lo
	v_cmpx_eq_u32_e32 1, v4
	s_cbranch_execz .LBB36_880
; %bb.879:
	v_mov_b32_e32 v3, 1
	s_waitcnt lgkmcnt(0)
	v_mov_b32_e32 v2, v6
	v_mov_b32_e32 v1, v7
.LBB36_880:
	s_or_b32 exec_lo, exec_lo, s8
	v_mov_b32_e32 v5, v3
.LBB36_881:
	s_or_b32 exec_lo, exec_lo, s1
.LBB36_882:
	s_or_b32 exec_lo, exec_lo, s0
	s_branch .LBB36_967
.LBB36_883:
                                        ; implicit-def: $vgpr4
                                        ; implicit-def: $vgpr6
	s_cbranch_execnz .LBB36_976
	s_branch .LBB36_1032
.LBB36_884:
                                        ; implicit-def: $vgpr4
                                        ; implicit-def: $vgpr6
	s_branch .LBB36_1032
.LBB36_885:
                                        ; implicit-def: $vgpr2
                                        ; implicit-def: $vgpr5
	s_cbranch_execz .LBB36_967
; %bb.886:
	s_waitcnt lgkmcnt(0)
	v_mov_b32_e32 v6, 0
	v_mov_b32_e32 v3, 0
	;; [unrolled: 1-line block ×3, first 2 shown]
	s_sub_i32 s1, s24, s4
	s_mov_b32 s0, exec_lo
	v_cmpx_gt_u32_e64 s1, v0
	s_cbranch_execz .LBB36_888
; %bb.887:
	v_lshlrev_b32_e32 v1, 2, v0
	s_abs_i32 s4, s23
	v_add_nc_u32_e32 v5, s5, v0
	v_cvt_f32_u32_e32 v2, s4
	s_sub_i32 s8, 0, s4
	global_load_dword v1, v1, s[2:3]
	v_sub_nc_u32_e32 v6, 0, v5
	v_rcp_iflag_f32_e32 v2, v2
	v_max_i32_e32 v6, v5, v6
	v_ashrrev_i32_e32 v5, 31, v5
	v_mul_f32_e32 v2, 0x4f7ffffe, v2
	v_cvt_u32_f32_e32 v2, v2
	v_mul_lo_u32 v4, s8, v2
	v_mul_hi_u32 v4, v2, v4
	v_add_nc_u32_e32 v2, v2, v4
	v_mul_hi_u32 v2, v6, v2
	v_mul_lo_u32 v2, v2, s4
	v_sub_nc_u32_e32 v2, v6, v2
	v_subrev_nc_u32_e32 v4, s4, v2
	v_cmp_le_u32_e32 vcc_lo, s4, v2
	v_cndmask_b32_e32 v2, v2, v4, vcc_lo
	v_subrev_nc_u32_e32 v4, s4, v2
	v_cmp_le_u32_e32 vcc_lo, s4, v2
	v_cndmask_b32_e32 v2, v2, v4, vcc_lo
	v_xor_b32_e32 v2, v2, v5
	v_sub_nc_u32_e32 v2, v2, v5
	v_cmp_gt_i32_e32 vcc_lo, s22, v2
	v_cndmask_b32_e64 v6, 0, 1, vcc_lo
.LBB36_888:
	s_or_b32 exec_lo, exec_lo, s0
	v_or_b32_e32 v2, 0x100, v0
	v_mov_b32_e32 v4, 0
	v_cmp_gt_u32_e32 vcc_lo, s1, v2
	s_and_saveexec_b32 s4, vcc_lo
	s_cbranch_execz .LBB36_890
; %bb.889:
	v_lshlrev_b32_e32 v3, 2, v0
	v_add_nc_u32_e32 v2, s5, v2
	global_load_dword v3, v3, s[2:3] offset:1024
	s_abs_i32 s2, s23
	v_sub_nc_u32_e32 v7, 0, v2
	v_cvt_f32_u32_e32 v4, s2
	s_sub_i32 s0, 0, s2
	v_max_i32_e32 v7, v2, v7
	v_rcp_iflag_f32_e32 v4, v4
	v_ashrrev_i32_e32 v2, 31, v2
	v_mul_f32_e32 v4, 0x4f7ffffe, v4
	v_cvt_u32_f32_e32 v4, v4
	v_mul_lo_u32 v5, s0, v4
	v_mul_hi_u32 v5, v4, v5
	v_add_nc_u32_e32 v4, v4, v5
	v_mul_hi_u32 v4, v7, v4
	v_mul_lo_u32 v4, v4, s2
	v_sub_nc_u32_e32 v4, v7, v4
	v_subrev_nc_u32_e32 v5, s2, v4
	v_cmp_le_u32_e64 s0, s2, v4
	v_cndmask_b32_e64 v4, v4, v5, s0
	v_subrev_nc_u32_e32 v5, s2, v4
	v_cmp_le_u32_e64 s0, s2, v4
	v_cndmask_b32_e64 v4, v4, v5, s0
	v_xor_b32_e32 v4, v4, v2
	v_sub_nc_u32_e32 v2, v4, v2
	v_cmp_gt_i32_e64 s0, s22, v2
	v_cndmask_b32_e64 v4, 0, 1, s0
.LBB36_890:
	s_or_b32 exec_lo, exec_lo, s4
	s_waitcnt vmcnt(0)
	v_mov_b32_e32 v2, v1
	s_and_saveexec_b32 s2, vcc_lo
	s_cbranch_execz .LBB36_898
; %bb.891:
	v_and_b32_e32 v2, v6, v4
	v_and_b32_e32 v5, 1, v6
                                        ; implicit-def: $vgpr6
	v_and_b32_e32 v2, 1, v2
	v_cmp_eq_u32_e32 vcc_lo, 1, v5
	v_cmp_eq_u32_e64 s0, 1, v2
	s_xor_b32 s0, s0, -1
	s_and_saveexec_b32 s3, s0
	s_xor_b32 s0, exec_lo, s3
	s_cbranch_execz .LBB36_895
; %bb.892:
	v_mov_b32_e32 v6, 1
	s_xor_b32 s4, vcc_lo, -1
	s_and_saveexec_b32 s3, s4
; %bb.893:
	v_mov_b32_e32 v1, v3
	v_mov_b32_e32 v6, v4
; %bb.894:
	s_or_b32 exec_lo, exec_lo, s3
                                        ; implicit-def: $vgpr3
.LBB36_895:
	s_or_saveexec_b32 s0, s0
	v_mov_b32_e32 v4, v1
	s_xor_b32 exec_lo, exec_lo, s0
; %bb.896:
	v_cmp_lt_f32_e32 vcc_lo, v3, v1
	v_mov_b32_e32 v6, 1
	v_cndmask_b32_e32 v4, v1, v3, vcc_lo
	v_cmp_lt_f32_e32 vcc_lo, v1, v3
	v_cndmask_b32_e32 v1, v1, v3, vcc_lo
; %bb.897:
	s_or_b32 exec_lo, exec_lo, s0
	v_mov_b32_e32 v2, v1
	v_mov_b32_e32 v1, v4
.LBB36_898:
	s_or_b32 exec_lo, exec_lo, s2
	v_mbcnt_lo_u32_b32 v3, -1, 0
	v_and_b32_e32 v5, 0xff, v6
	s_min_u32 s0, s1, 0x100
	s_mov_b32 s1, exec_lo
	v_cmp_ne_u32_e32 vcc_lo, 31, v3
	v_add_nc_u32_e32 v10, 1, v3
	v_add_co_ci_u32_e64 v4, null, 0, v3, vcc_lo
	v_lshlrev_b32_e32 v4, 2, v4
	ds_bpermute_b32 v9, v4, v5
	ds_bpermute_b32 v7, v4, v1
	;; [unrolled: 1-line block ×3, first 2 shown]
	v_and_b32_e32 v4, 0xe0, v0
	v_sub_nc_u32_e64 v4, s0, v4 clamp
	v_cmpx_lt_u32_e64 v10, v4
	s_xor_b32 s1, exec_lo, s1
	s_cbranch_execz .LBB36_906
; %bb.899:
	s_waitcnt lgkmcnt(2)
	v_and_b32_e32 v5, v9, v5
	s_mov_b32 s2, exec_lo
	v_cmpx_ne_u32_e32 0, v5
	s_xor_b32 s2, exec_lo, s2
	s_cbranch_execz .LBB36_901
; %bb.900:
	s_waitcnt lgkmcnt(1)
	v_cmp_gt_f32_e32 vcc_lo, v1, v7
                                        ; implicit-def: $vgpr9
                                        ; implicit-def: $vgpr6
	v_cndmask_b32_e32 v7, v1, v7, vcc_lo
	s_waitcnt lgkmcnt(0)
	v_cmp_lt_f32_e32 vcc_lo, v2, v8
	v_cndmask_b32_e32 v8, v2, v8, vcc_lo
                                        ; implicit-def: $vgpr2
.LBB36_901:
	s_or_saveexec_b32 s2, s2
	v_mov_b32_e32 v5, 1
	s_xor_b32 exec_lo, exec_lo, s2
	s_cbranch_execz .LBB36_905
; %bb.902:
	v_and_b32_e32 v5, 1, v6
	s_mov_b32 s3, exec_lo
	v_cmpx_eq_u32_e32 1, v5
	s_cbranch_execz .LBB36_904
; %bb.903:
	v_mov_b32_e32 v9, 1
	s_waitcnt lgkmcnt(0)
	v_mov_b32_e32 v8, v2
	v_mov_b32_e32 v7, v1
.LBB36_904:
	s_or_b32 exec_lo, exec_lo, s3
	v_mov_b32_e32 v5, v9
.LBB36_905:
	s_or_b32 exec_lo, exec_lo, s2
	v_and_b32_e32 v5, 0xff, v5
	s_waitcnt lgkmcnt(1)
	v_mov_b32_e32 v1, v7
	s_waitcnt lgkmcnt(0)
	v_mov_b32_e32 v2, v8
.LBB36_906:
	s_or_b32 exec_lo, exec_lo, s1
	v_cmp_gt_u32_e32 vcc_lo, 30, v3
	s_waitcnt lgkmcnt(2)
	v_add_nc_u32_e32 v9, 2, v3
	s_mov_b32 s1, exec_lo
	v_cndmask_b32_e64 v6, 0, 2, vcc_lo
	v_add_lshl_u32 v6, v6, v3, 2
	s_waitcnt lgkmcnt(0)
	ds_bpermute_b32 v8, v6, v5
	ds_bpermute_b32 v7, v6, v1
	;; [unrolled: 1-line block ×3, first 2 shown]
	v_cmpx_lt_u32_e64 v9, v4
	s_cbranch_execz .LBB36_914
; %bb.907:
	s_waitcnt lgkmcnt(2)
	v_and_b32_e32 v9, v5, v8
	s_mov_b32 s2, exec_lo
	v_and_b32_e32 v9, 1, v9
	v_cmpx_eq_u32_e32 1, v9
	s_xor_b32 s2, exec_lo, s2
	s_cbranch_execz .LBB36_909
; %bb.908:
	s_waitcnt lgkmcnt(1)
	v_cmp_gt_f32_e32 vcc_lo, v1, v7
                                        ; implicit-def: $vgpr8
                                        ; implicit-def: $vgpr5
	v_cndmask_b32_e32 v7, v1, v7, vcc_lo
	s_waitcnt lgkmcnt(0)
	v_cmp_lt_f32_e32 vcc_lo, v2, v6
	v_cndmask_b32_e32 v6, v2, v6, vcc_lo
                                        ; implicit-def: $vgpr2
.LBB36_909:
	s_or_saveexec_b32 s2, s2
	v_mov_b32_e32 v9, 1
	s_xor_b32 exec_lo, exec_lo, s2
	s_cbranch_execz .LBB36_913
; %bb.910:
	v_and_b32_e32 v5, 1, v5
	s_mov_b32 s3, exec_lo
	v_cmpx_eq_u32_e32 1, v5
	s_cbranch_execz .LBB36_912
; %bb.911:
	v_mov_b32_e32 v8, 1
	s_waitcnt lgkmcnt(0)
	v_mov_b32_e32 v6, v2
	v_mov_b32_e32 v7, v1
.LBB36_912:
	s_or_b32 exec_lo, exec_lo, s3
	v_mov_b32_e32 v9, v8
.LBB36_913:
	s_or_b32 exec_lo, exec_lo, s2
	v_and_b32_e32 v5, 0xff, v9
	s_waitcnt lgkmcnt(1)
	v_mov_b32_e32 v1, v7
	s_waitcnt lgkmcnt(0)
	v_mov_b32_e32 v2, v6
.LBB36_914:
	s_or_b32 exec_lo, exec_lo, s1
	v_cmp_gt_u32_e32 vcc_lo, 28, v3
	v_add_nc_u32_e32 v9, 4, v3
	s_mov_b32 s1, exec_lo
	s_waitcnt lgkmcnt(0)
	v_cndmask_b32_e64 v6, 0, 4, vcc_lo
	v_add_lshl_u32 v6, v6, v3, 2
	ds_bpermute_b32 v8, v6, v5
	ds_bpermute_b32 v7, v6, v1
	ds_bpermute_b32 v6, v6, v2
	v_cmpx_lt_u32_e64 v9, v4
	s_cbranch_execz .LBB36_922
; %bb.915:
	s_waitcnt lgkmcnt(2)
	v_and_b32_e32 v9, v5, v8
	s_mov_b32 s2, exec_lo
	v_and_b32_e32 v9, 1, v9
	v_cmpx_eq_u32_e32 1, v9
	s_xor_b32 s2, exec_lo, s2
	s_cbranch_execz .LBB36_917
; %bb.916:
	s_waitcnt lgkmcnt(1)
	v_cmp_gt_f32_e32 vcc_lo, v1, v7
                                        ; implicit-def: $vgpr8
                                        ; implicit-def: $vgpr5
	v_cndmask_b32_e32 v7, v1, v7, vcc_lo
	s_waitcnt lgkmcnt(0)
	v_cmp_lt_f32_e32 vcc_lo, v2, v6
	v_cndmask_b32_e32 v6, v2, v6, vcc_lo
                                        ; implicit-def: $vgpr2
.LBB36_917:
	s_or_saveexec_b32 s2, s2
	v_mov_b32_e32 v9, 1
	s_xor_b32 exec_lo, exec_lo, s2
	s_cbranch_execz .LBB36_921
; %bb.918:
	v_and_b32_e32 v5, 1, v5
	s_mov_b32 s3, exec_lo
	v_cmpx_eq_u32_e32 1, v5
	s_cbranch_execz .LBB36_920
; %bb.919:
	v_mov_b32_e32 v8, 1
	s_waitcnt lgkmcnt(0)
	v_mov_b32_e32 v6, v2
	v_mov_b32_e32 v7, v1
.LBB36_920:
	s_or_b32 exec_lo, exec_lo, s3
	v_mov_b32_e32 v9, v8
.LBB36_921:
	s_or_b32 exec_lo, exec_lo, s2
	v_and_b32_e32 v5, 0xff, v9
	s_waitcnt lgkmcnt(1)
	v_mov_b32_e32 v1, v7
	s_waitcnt lgkmcnt(0)
	v_mov_b32_e32 v2, v6
.LBB36_922:
	s_or_b32 exec_lo, exec_lo, s1
	v_cmp_gt_u32_e32 vcc_lo, 24, v3
	v_add_nc_u32_e32 v9, 8, v3
	s_mov_b32 s1, exec_lo
	s_waitcnt lgkmcnt(0)
	v_cndmask_b32_e64 v6, 0, 8, vcc_lo
	v_add_lshl_u32 v6, v6, v3, 2
	ds_bpermute_b32 v8, v6, v5
	ds_bpermute_b32 v7, v6, v1
	;; [unrolled: 1-line block ×3, first 2 shown]
	v_cmpx_lt_u32_e64 v9, v4
	s_cbranch_execz .LBB36_930
; %bb.923:
	s_waitcnt lgkmcnt(2)
	v_and_b32_e32 v9, v5, v8
	s_mov_b32 s2, exec_lo
	v_and_b32_e32 v9, 1, v9
	v_cmpx_eq_u32_e32 1, v9
	s_xor_b32 s2, exec_lo, s2
	s_cbranch_execz .LBB36_925
; %bb.924:
	s_waitcnt lgkmcnt(1)
	v_cmp_gt_f32_e32 vcc_lo, v1, v7
                                        ; implicit-def: $vgpr8
                                        ; implicit-def: $vgpr5
	v_cndmask_b32_e32 v7, v1, v7, vcc_lo
	s_waitcnt lgkmcnt(0)
	v_cmp_lt_f32_e32 vcc_lo, v2, v6
	v_cndmask_b32_e32 v6, v2, v6, vcc_lo
                                        ; implicit-def: $vgpr2
.LBB36_925:
	s_or_saveexec_b32 s2, s2
	v_mov_b32_e32 v9, 1
	s_xor_b32 exec_lo, exec_lo, s2
	s_cbranch_execz .LBB36_929
; %bb.926:
	v_and_b32_e32 v5, 1, v5
	s_mov_b32 s3, exec_lo
	v_cmpx_eq_u32_e32 1, v5
	s_cbranch_execz .LBB36_928
; %bb.927:
	v_mov_b32_e32 v8, 1
	s_waitcnt lgkmcnt(0)
	v_mov_b32_e32 v6, v2
	v_mov_b32_e32 v7, v1
.LBB36_928:
	s_or_b32 exec_lo, exec_lo, s3
	v_mov_b32_e32 v9, v8
.LBB36_929:
	s_or_b32 exec_lo, exec_lo, s2
	v_and_b32_e32 v5, 0xff, v9
	s_waitcnt lgkmcnt(1)
	v_mov_b32_e32 v1, v7
	s_waitcnt lgkmcnt(0)
	v_mov_b32_e32 v2, v6
.LBB36_930:
	s_or_b32 exec_lo, exec_lo, s1
	s_waitcnt lgkmcnt(0)
	v_lshlrev_b32_e32 v6, 2, v3
	v_add_nc_u32_e32 v10, 16, v3
	v_or_b32_e32 v8, 64, v6
	v_cmp_lt_u32_e32 vcc_lo, v10, v4
	v_mov_b32_e32 v4, v5
	ds_bpermute_b32 v9, v8, v5
	ds_bpermute_b32 v7, v8, v1
	;; [unrolled: 1-line block ×3, first 2 shown]
	s_and_saveexec_b32 s1, vcc_lo
	s_cbranch_execz .LBB36_938
; %bb.931:
	s_waitcnt lgkmcnt(2)
	v_and_b32_e32 v4, v5, v9
	s_mov_b32 s2, exec_lo
	v_and_b32_e32 v4, 1, v4
	v_cmpx_eq_u32_e32 1, v4
	s_xor_b32 s2, exec_lo, s2
	s_cbranch_execz .LBB36_933
; %bb.932:
	s_waitcnt lgkmcnt(1)
	v_cmp_gt_f32_e32 vcc_lo, v1, v7
                                        ; implicit-def: $vgpr9
                                        ; implicit-def: $vgpr5
	v_cndmask_b32_e32 v7, v1, v7, vcc_lo
	s_waitcnt lgkmcnt(0)
	v_cmp_lt_f32_e32 vcc_lo, v2, v8
	v_cndmask_b32_e32 v8, v2, v8, vcc_lo
                                        ; implicit-def: $vgpr2
.LBB36_933:
	s_or_saveexec_b32 s2, s2
	v_mov_b32_e32 v4, 1
	s_xor_b32 exec_lo, exec_lo, s2
	s_cbranch_execz .LBB36_937
; %bb.934:
	v_and_b32_e32 v4, 1, v5
	s_mov_b32 s3, exec_lo
	v_cmpx_eq_u32_e32 1, v4
	s_cbranch_execz .LBB36_936
; %bb.935:
	v_mov_b32_e32 v9, 1
	s_waitcnt lgkmcnt(0)
	v_mov_b32_e32 v8, v2
	v_mov_b32_e32 v7, v1
.LBB36_936:
	s_or_b32 exec_lo, exec_lo, s3
	v_mov_b32_e32 v4, v9
.LBB36_937:
	s_or_b32 exec_lo, exec_lo, s2
	v_and_b32_e32 v5, 0xff, v4
	s_waitcnt lgkmcnt(0)
	v_mov_b32_e32 v2, v8
	v_mov_b32_e32 v1, v7
.LBB36_938:
	s_or_b32 exec_lo, exec_lo, s1
	s_mov_b32 s1, exec_lo
	v_cmpx_eq_u32_e32 0, v3
	s_cbranch_execz .LBB36_940
; %bb.939:
	s_waitcnt lgkmcnt(1)
	v_lshrrev_b32_e32 v7, 5, v0
	v_mul_u32_u24_e32 v7, 12, v7
	ds_write_b8 v7, v4
	ds_write2_b32 v7, v1, v2 offset0:1 offset1:2
.LBB36_940:
	s_or_b32 exec_lo, exec_lo, s1
	s_mov_b32 s1, exec_lo
	s_waitcnt lgkmcnt(0)
	s_barrier
	buffer_gl0_inv
	v_cmpx_gt_u32_e32 8, v0
	s_cbranch_execz .LBB36_966
; %bb.941:
	v_mul_u32_u24_e32 v1, 12, v3
	v_and_b32_e32 v4, 7, v3
	s_add_i32 s0, s0, 31
	ds_read_u8 v10, v1
	ds_read2_b32 v[1:2], v1 offset0:1 offset1:2
	v_cmp_ne_u32_e32 vcc_lo, 7, v4
	v_add_nc_u32_e32 v11, 1, v4
	s_lshr_b32 s0, s0, 5
	v_add_co_ci_u32_e64 v5, null, 0, v3, vcc_lo
	v_cmp_gt_u32_e32 vcc_lo, s0, v11
	v_lshlrev_b32_e32 v8, 2, v5
	s_waitcnt lgkmcnt(1)
	v_and_b32_e32 v5, 0xff, v10
	s_waitcnt lgkmcnt(0)
	ds_bpermute_b32 v7, v8, v1
	v_mov_b32_e32 v11, v1
	v_mov_b32_e32 v12, v2
	ds_bpermute_b32 v9, v8, v5
	ds_bpermute_b32 v8, v8, v2
	s_and_saveexec_b32 s2, vcc_lo
	s_cbranch_execz .LBB36_949
; %bb.942:
	s_waitcnt lgkmcnt(1)
	v_and_b32_e32 v5, v5, v9
	s_mov_b32 s3, exec_lo
	v_and_b32_e32 v5, 1, v5
	v_cmpx_eq_u32_e32 1, v5
	s_xor_b32 s3, exec_lo, s3
	s_cbranch_execz .LBB36_944
; %bb.943:
	v_cmp_gt_f32_e32 vcc_lo, v1, v7
                                        ; implicit-def: $vgpr9
                                        ; implicit-def: $vgpr10
	v_cndmask_b32_e32 v7, v1, v7, vcc_lo
	s_waitcnt lgkmcnt(0)
	v_cmp_lt_f32_e32 vcc_lo, v2, v8
	v_cndmask_b32_e32 v8, v2, v8, vcc_lo
                                        ; implicit-def: $vgpr2
.LBB36_944:
	s_or_saveexec_b32 s3, s3
	v_mov_b32_e32 v5, 1
	s_xor_b32 exec_lo, exec_lo, s3
	s_cbranch_execz .LBB36_948
; %bb.945:
	v_and_b32_e32 v5, 1, v10
	s_mov_b32 s4, exec_lo
	v_cmpx_eq_u32_e32 1, v5
	s_cbranch_execz .LBB36_947
; %bb.946:
	v_mov_b32_e32 v9, 1
	s_waitcnt lgkmcnt(0)
	v_mov_b32_e32 v8, v2
	v_mov_b32_e32 v7, v1
.LBB36_947:
	s_or_b32 exec_lo, exec_lo, s4
	v_mov_b32_e32 v5, v9
.LBB36_948:
	s_or_b32 exec_lo, exec_lo, s3
	v_and_b32_e32 v5, 0xff, v5
	v_mov_b32_e32 v11, v7
	s_waitcnt lgkmcnt(0)
	v_mov_b32_e32 v12, v8
	v_mov_b32_e32 v2, v8
	;; [unrolled: 1-line block ×3, first 2 shown]
.LBB36_949:
	s_or_b32 exec_lo, exec_lo, s2
	v_cmp_gt_u32_e32 vcc_lo, 6, v4
	s_waitcnt lgkmcnt(1)
	v_add_nc_u32_e32 v9, 2, v4
	s_mov_b32 s2, exec_lo
	v_cndmask_b32_e64 v7, 0, 2, vcc_lo
	v_add_lshl_u32 v7, v7, v3, 2
	s_waitcnt lgkmcnt(0)
	ds_bpermute_b32 v8, v7, v5
	ds_bpermute_b32 v3, v7, v11
	;; [unrolled: 1-line block ×3, first 2 shown]
	v_cmpx_gt_u32_e64 s0, v9
	s_cbranch_execz .LBB36_957
; %bb.950:
	s_waitcnt lgkmcnt(2)
	v_and_b32_e32 v9, v5, v8
	s_mov_b32 s3, exec_lo
	v_and_b32_e32 v9, 1, v9
	v_cmpx_eq_u32_e32 1, v9
	s_xor_b32 s3, exec_lo, s3
	s_cbranch_execz .LBB36_952
; %bb.951:
	s_waitcnt lgkmcnt(1)
	v_cmp_gt_f32_e32 vcc_lo, v1, v3
                                        ; implicit-def: $vgpr8
                                        ; implicit-def: $vgpr5
	v_cndmask_b32_e32 v3, v1, v3, vcc_lo
	s_waitcnt lgkmcnt(0)
	v_cmp_lt_f32_e32 vcc_lo, v2, v7
	v_cndmask_b32_e32 v7, v2, v7, vcc_lo
                                        ; implicit-def: $vgpr2
.LBB36_952:
	s_or_saveexec_b32 s3, s3
	v_mov_b32_e32 v9, 1
	s_xor_b32 exec_lo, exec_lo, s3
	s_cbranch_execz .LBB36_956
; %bb.953:
	v_and_b32_e32 v5, 1, v5
	s_mov_b32 s4, exec_lo
	v_cmpx_eq_u32_e32 1, v5
	s_cbranch_execz .LBB36_955
; %bb.954:
	v_mov_b32_e32 v8, 1
	s_waitcnt lgkmcnt(0)
	v_mov_b32_e32 v7, v2
	v_mov_b32_e32 v3, v1
.LBB36_955:
	s_or_b32 exec_lo, exec_lo, s4
	v_mov_b32_e32 v9, v8
.LBB36_956:
	s_or_b32 exec_lo, exec_lo, s3
	v_and_b32_e32 v5, 0xff, v9
	s_waitcnt lgkmcnt(1)
	v_mov_b32_e32 v11, v3
	s_waitcnt lgkmcnt(0)
	v_mov_b32_e32 v12, v7
	v_mov_b32_e32 v2, v7
	;; [unrolled: 1-line block ×3, first 2 shown]
.LBB36_957:
	s_or_b32 exec_lo, exec_lo, s2
	v_or_b32_e32 v6, 16, v6
	v_add_nc_u32_e32 v4, 4, v4
	s_waitcnt lgkmcnt(0)
	ds_bpermute_b32 v7, v6, v5
	ds_bpermute_b32 v3, v6, v11
	ds_bpermute_b32 v6, v6, v12
	v_cmp_gt_u32_e32 vcc_lo, s0, v4
	s_and_saveexec_b32 s0, vcc_lo
	s_cbranch_execz .LBB36_965
; %bb.958:
	s_waitcnt lgkmcnt(2)
	v_and_b32_e32 v4, v5, v7
	s_mov_b32 s2, exec_lo
	v_and_b32_e32 v4, 1, v4
	v_cmpx_eq_u32_e32 1, v4
	s_xor_b32 s2, exec_lo, s2
	s_cbranch_execz .LBB36_960
; %bb.959:
	s_waitcnt lgkmcnt(1)
	v_cmp_gt_f32_e32 vcc_lo, v1, v3
                                        ; implicit-def: $vgpr7
                                        ; implicit-def: $vgpr5
	v_cndmask_b32_e32 v3, v1, v3, vcc_lo
	s_waitcnt lgkmcnt(0)
	v_cmp_lt_f32_e32 vcc_lo, v2, v6
	v_cndmask_b32_e32 v6, v2, v6, vcc_lo
                                        ; implicit-def: $vgpr2
.LBB36_960:
	s_or_saveexec_b32 s2, s2
	v_mov_b32_e32 v4, 1
	s_xor_b32 exec_lo, exec_lo, s2
	s_cbranch_execz .LBB36_964
; %bb.961:
	v_and_b32_e32 v4, 1, v5
	s_mov_b32 s3, exec_lo
	v_cmpx_eq_u32_e32 1, v4
	s_cbranch_execz .LBB36_963
; %bb.962:
	v_mov_b32_e32 v7, 1
	s_waitcnt lgkmcnt(0)
	v_mov_b32_e32 v6, v2
	v_mov_b32_e32 v3, v1
.LBB36_963:
	s_or_b32 exec_lo, exec_lo, s3
	v_mov_b32_e32 v4, v7
.LBB36_964:
	s_or_b32 exec_lo, exec_lo, s2
	s_waitcnt lgkmcnt(0)
	v_mov_b32_e32 v2, v6
	v_mov_b32_e32 v1, v3
	;; [unrolled: 1-line block ×3, first 2 shown]
.LBB36_965:
	s_or_b32 exec_lo, exec_lo, s0
.LBB36_966:
	s_or_b32 exec_lo, exec_lo, s1
.LBB36_967:
	s_mov_b32 s0, exec_lo
                                        ; implicit-def: $vgpr4
                                        ; implicit-def: $vgpr6
	v_cmpx_eq_u32_e32 0, v0
	s_xor_b32 s0, exec_lo, s0
	s_cbranch_execz .LBB36_975
; %bb.968:
	v_mov_b32_e32 v4, s19
	s_waitcnt lgkmcnt(1)
	v_mov_b32_e32 v3, s18
	s_waitcnt lgkmcnt(0)
	v_mov_b32_e32 v6, s30
	s_cmp_eq_u64 s[24:25], 0
	s_cbranch_scc1 .LBB36_974
; %bb.969:
	v_and_b32_e32 v3, 1, v5
	s_bitcmp1_b32 s30, 0
                                        ; implicit-def: $vgpr6
	s_cselect_b32 s1, -1, 0
	v_cmp_eq_u32_e32 vcc_lo, 1, v3
                                        ; implicit-def: $vgpr4
	s_and_b32 s2, s1, vcc_lo
	s_xor_b32 s2, s2, -1
	s_and_saveexec_b32 s3, s2
	s_xor_b32 s2, exec_lo, s3
; %bb.970:
	v_cndmask_b32_e64 v6, v5, 1, s1
	v_cndmask_b32_e64 v3, v1, s18, s1
	;; [unrolled: 1-line block ×3, first 2 shown]
                                        ; implicit-def: $vgpr1
; %bb.971:
	s_andn2_saveexec_b32 s1, s2
; %bb.972:
	v_cmp_gt_f32_e32 vcc_lo, s18, v1
	v_mov_b32_e32 v6, 1
	v_cndmask_b32_e32 v3, s18, v1, vcc_lo
	v_cmp_lt_f32_e32 vcc_lo, s19, v2
	v_cndmask_b32_e32 v4, s19, v2, vcc_lo
; %bb.973:
	s_or_b32 exec_lo, exec_lo, s1
.LBB36_974:
	s_or_b32 s10, s10, exec_lo
.LBB36_975:
	s_or_b32 exec_lo, exec_lo, s0
	s_branch .LBB36_1032
.LBB36_976:
	s_cmp_eq_u32 s28, 1
	s_cbranch_scc0 .LBB36_1031
; %bb.977:
	s_mov_b32 s3, 0
	s_lshr_b64 s[0:1], s[24:25], 8
	s_mov_b32 s7, s3
	s_lshl_b32 s2, s6, 8
	s_cmp_lg_u64 s[0:1], s[6:7]
	s_cbranch_scc0 .LBB36_1035
; %bb.978:
	s_lshl_b64 s[0:1], s[2:3], 2
	s_waitcnt lgkmcnt(1)
	v_lshlrev_b32_e32 v1, 2, v0
	s_add_u32 s0, s20, s0
	s_addc_u32 s1, s21, s1
	v_add3_u32 v4, s29, s2, v0
	global_load_dword v1, v1, s[0:1]
	s_abs_i32 s0, s23
	s_waitcnt lgkmcnt(0)
	v_cvt_f32_u32_e32 v2, s0
	s_sub_i32 s1, 0, s0
	v_sub_nc_u32_e32 v5, 0, v4
	v_rcp_iflag_f32_e32 v2, v2
	v_max_i32_e32 v5, v4, v5
	v_ashrrev_i32_e32 v4, 31, v4
	v_mul_f32_e32 v2, 0x4f7ffffe, v2
	v_cvt_u32_f32_e32 v2, v2
	v_mul_lo_u32 v3, s1, v2
	v_mul_hi_u32 v3, v2, v3
	v_add_nc_u32_e32 v2, v2, v3
	v_mul_hi_u32 v2, v5, v2
	v_mul_lo_u32 v2, v2, s0
	v_sub_nc_u32_e32 v2, v5, v2
	v_subrev_nc_u32_e32 v3, s0, v2
	v_cmp_le_u32_e32 vcc_lo, s0, v2
	v_cndmask_b32_e32 v2, v2, v3, vcc_lo
	v_subrev_nc_u32_e32 v3, s0, v2
	v_cmp_le_u32_e32 vcc_lo, s0, v2
	v_cndmask_b32_e32 v2, v2, v3, vcc_lo
	v_xor_b32_e32 v2, v2, v4
	v_sub_nc_u32_e32 v2, v2, v4
                                        ; implicit-def: $vgpr4
	v_cmp_gt_i32_e64 s0, s22, v2
	v_cndmask_b32_e64 v3, 0, 1, s0
	v_mov_b32_dpp v2, v3 quad_perm:[1,0,3,2] row_mask:0xf bank_mask:0xf
	v_and_b32_e32 v2, 1, v2
	v_cmp_eq_u32_e32 vcc_lo, 1, v2
	s_and_b32 s0, vcc_lo, s0
	s_xor_b32 s0, s0, -1
	s_waitcnt vmcnt(0)
	v_mov_b32_dpp v2, v1 quad_perm:[1,0,3,2] row_mask:0xf bank_mask:0xf
	s_and_saveexec_b32 s1, s0
	s_xor_b32 s0, exec_lo, s1
	s_cbranch_execz .LBB36_982
; %bb.979:
	v_mov_b32_e32 v4, 1
	s_xor_b32 s4, vcc_lo, -1
	s_and_saveexec_b32 s1, s4
; %bb.980:
	v_mov_b32_e32 v2, v1
	v_mov_b32_e32 v4, v3
; %bb.981:
	s_or_b32 exec_lo, exec_lo, s1
                                        ; implicit-def: $vgpr1
.LBB36_982:
	s_or_saveexec_b32 s0, s0
	v_mov_b32_e32 v6, v2
	s_xor_b32 exec_lo, exec_lo, s0
; %bb.983:
	v_cmp_lt_f32_e32 vcc_lo, v1, v2
	v_mov_b32_e32 v4, 1
	v_cndmask_b32_e32 v3, v2, v1, vcc_lo
	v_cmp_gt_f32_e32 vcc_lo, v1, v2
	v_cndmask_b32_e32 v6, v2, v1, vcc_lo
	v_mov_b32_e32 v2, v3
; %bb.984:
	s_or_b32 exec_lo, exec_lo, s0
	v_mov_b32_dpp v1, v4 quad_perm:[2,3,0,1] row_mask:0xf bank_mask:0xf
	v_and_b32_e32 v3, v1, v4
	v_and_b32_e32 v5, 1, v1
	v_mov_b32_dpp v1, v2 quad_perm:[2,3,0,1] row_mask:0xf bank_mask:0xf
	v_and_b32_e32 v7, 1, v3
	v_mov_b32_dpp v3, v6 quad_perm:[2,3,0,1] row_mask:0xf bank_mask:0xf
	v_cmp_ne_u32_e32 vcc_lo, 1, v5
                                        ; implicit-def: $vgpr5
	v_cmp_ne_u32_e64 s0, 1, v7
	s_and_saveexec_b32 s1, s0
	s_xor_b32 s0, exec_lo, s1
	s_cbranch_execz .LBB36_988
; %bb.985:
	v_mov_b32_e32 v5, 1
	s_and_saveexec_b32 s1, vcc_lo
; %bb.986:
	v_mov_b32_e32 v3, v6
	v_mov_b32_e32 v1, v2
	;; [unrolled: 1-line block ×3, first 2 shown]
; %bb.987:
	s_or_b32 exec_lo, exec_lo, s1
                                        ; implicit-def: $vgpr2
                                        ; implicit-def: $vgpr6
.LBB36_988:
	s_andn2_saveexec_b32 s0, s0
; %bb.989:
	v_cmp_lt_f32_e32 vcc_lo, v2, v1
	v_mov_b32_e32 v5, 1
	v_cndmask_b32_e32 v1, v1, v2, vcc_lo
	v_cmp_gt_f32_e32 vcc_lo, v6, v3
	v_cndmask_b32_e32 v3, v3, v6, vcc_lo
; %bb.990:
	s_or_b32 exec_lo, exec_lo, s0
	v_mov_b32_dpp v2, v5 row_ror:4 row_mask:0xf bank_mask:0xf
	v_and_b32_e32 v4, v2, v5
	v_and_b32_e32 v6, 1, v2
	v_mov_b32_dpp v2, v1 row_ror:4 row_mask:0xf bank_mask:0xf
	v_and_b32_e32 v7, 1, v4
	v_mov_b32_dpp v4, v3 row_ror:4 row_mask:0xf bank_mask:0xf
	v_cmp_ne_u32_e32 vcc_lo, 1, v6
                                        ; implicit-def: $vgpr6
	v_cmp_ne_u32_e64 s0, 1, v7
	s_and_saveexec_b32 s1, s0
	s_xor_b32 s0, exec_lo, s1
	s_cbranch_execz .LBB36_994
; %bb.991:
	v_mov_b32_e32 v6, 1
	s_and_saveexec_b32 s1, vcc_lo
; %bb.992:
	v_mov_b32_e32 v4, v3
	v_mov_b32_e32 v2, v1
	;; [unrolled: 1-line block ×3, first 2 shown]
; %bb.993:
	s_or_b32 exec_lo, exec_lo, s1
                                        ; implicit-def: $vgpr1
                                        ; implicit-def: $vgpr3
.LBB36_994:
	s_andn2_saveexec_b32 s0, s0
; %bb.995:
	v_cmp_lt_f32_e32 vcc_lo, v1, v2
	v_mov_b32_e32 v6, 1
	v_cndmask_b32_e32 v2, v2, v1, vcc_lo
	v_cmp_gt_f32_e32 vcc_lo, v3, v4
	v_cndmask_b32_e32 v4, v4, v3, vcc_lo
; %bb.996:
	s_or_b32 exec_lo, exec_lo, s0
	v_mov_b32_dpp v1, v6 row_ror:8 row_mask:0xf bank_mask:0xf
	v_and_b32_e32 v3, v1, v6
	v_and_b32_e32 v5, 1, v1
	v_mov_b32_dpp v1, v2 row_ror:8 row_mask:0xf bank_mask:0xf
	v_and_b32_e32 v7, 1, v3
	v_mov_b32_dpp v3, v4 row_ror:8 row_mask:0xf bank_mask:0xf
	v_cmp_ne_u32_e32 vcc_lo, 1, v5
                                        ; implicit-def: $vgpr5
	v_cmp_ne_u32_e64 s0, 1, v7
	s_and_saveexec_b32 s1, s0
	s_xor_b32 s0, exec_lo, s1
	s_cbranch_execz .LBB36_1000
; %bb.997:
	v_mov_b32_e32 v5, 1
	s_and_saveexec_b32 s1, vcc_lo
; %bb.998:
	v_mov_b32_e32 v3, v4
	v_mov_b32_e32 v1, v2
	;; [unrolled: 1-line block ×3, first 2 shown]
; %bb.999:
	s_or_b32 exec_lo, exec_lo, s1
                                        ; implicit-def: $vgpr2
                                        ; implicit-def: $vgpr4
.LBB36_1000:
	s_andn2_saveexec_b32 s0, s0
; %bb.1001:
	v_cmp_lt_f32_e32 vcc_lo, v2, v1
	v_mov_b32_e32 v5, 1
	v_cndmask_b32_e32 v1, v1, v2, vcc_lo
	v_cmp_gt_f32_e32 vcc_lo, v4, v3
	v_cndmask_b32_e32 v3, v3, v4, vcc_lo
; %bb.1002:
	s_or_b32 exec_lo, exec_lo, s0
	ds_swizzle_b32 v6, v5 offset:swizzle(BROADCAST,32,15)
	ds_swizzle_b32 v4, v1 offset:swizzle(BROADCAST,32,15)
	ds_swizzle_b32 v2, v3 offset:swizzle(BROADCAST,32,15)
	s_waitcnt lgkmcnt(2)
	v_and_b32_e32 v7, v6, v5
	v_and_b32_e32 v6, 1, v6
	;; [unrolled: 1-line block ×3, first 2 shown]
	v_cmp_ne_u32_e32 vcc_lo, 1, v6
                                        ; implicit-def: $vgpr6
	v_cmp_ne_u32_e64 s0, 1, v7
	s_and_saveexec_b32 s1, s0
	s_xor_b32 s0, exec_lo, s1
	s_cbranch_execz .LBB36_1006
; %bb.1003:
	v_mov_b32_e32 v6, 1
	s_and_saveexec_b32 s1, vcc_lo
	s_cbranch_execz .LBB36_1005
; %bb.1004:
	s_waitcnt lgkmcnt(0)
	v_mov_b32_e32 v2, v3
	v_mov_b32_e32 v4, v1
	v_mov_b32_e32 v6, v5
.LBB36_1005:
	s_or_b32 exec_lo, exec_lo, s1
                                        ; implicit-def: $vgpr1
                                        ; implicit-def: $vgpr3
.LBB36_1006:
	s_andn2_saveexec_b32 s0, s0
	s_cbranch_execz .LBB36_1008
; %bb.1007:
	s_waitcnt lgkmcnt(1)
	v_cmp_lt_f32_e32 vcc_lo, v1, v4
	v_mov_b32_e32 v6, 1
	v_cndmask_b32_e32 v4, v4, v1, vcc_lo
	s_waitcnt lgkmcnt(0)
	v_cmp_gt_f32_e32 vcc_lo, v3, v2
	v_cndmask_b32_e32 v2, v2, v3, vcc_lo
.LBB36_1008:
	s_or_b32 exec_lo, exec_lo, s0
	v_mov_b32_e32 v3, 0
	s_mov_b32 s0, exec_lo
	ds_bpermute_b32 v5, v3, v6 offset:124
	s_waitcnt lgkmcnt(2)
	ds_bpermute_b32 v1, v3, v4 offset:124
	s_waitcnt lgkmcnt(2)
	ds_bpermute_b32 v2, v3, v2 offset:124
	v_mbcnt_lo_u32_b32 v3, -1, 0
	v_cmpx_eq_u32_e32 0, v3
	s_cbranch_execz .LBB36_1010
; %bb.1009:
	v_lshrrev_b32_e32 v4, 5, v0
	v_mul_u32_u24_e32 v4, 12, v4
	s_waitcnt lgkmcnt(2)
	ds_write_b8 v4, v5 offset:192
	s_waitcnt lgkmcnt(1)
	ds_write2_b32 v4, v1, v2 offset0:49 offset1:50
.LBB36_1010:
	s_or_b32 exec_lo, exec_lo, s0
	s_mov_b32 s0, exec_lo
	s_waitcnt lgkmcnt(0)
	s_barrier
	buffer_gl0_inv
	v_cmpx_gt_u32_e32 32, v0
	s_cbranch_execz .LBB36_1030
; %bb.1011:
	v_and_b32_e32 v6, 7, v3
	s_mov_b32 s1, exec_lo
	v_mul_u32_u24_e32 v1, 12, v6
	v_cmp_ne_u32_e32 vcc_lo, 7, v6
	ds_read_u8 v9, v1 offset:192
	v_add_co_ci_u32_e64 v4, null, 0, v3, vcc_lo
	ds_read2_b32 v[1:2], v1 offset0:49 offset1:50
	v_lshlrev_b32_e32 v4, 2, v4
	s_waitcnt lgkmcnt(1)
	v_and_b32_e32 v5, 0xff, v9
	ds_bpermute_b32 v7, v4, v5
	s_waitcnt lgkmcnt(1)
	ds_bpermute_b32 v5, v4, v1
	ds_bpermute_b32 v4, v4, v2
	s_waitcnt lgkmcnt(2)
	v_and_b32_e32 v8, v9, v7
	v_and_b32_e32 v8, 1, v8
	v_cmpx_eq_u32_e32 1, v8
	s_xor_b32 s1, exec_lo, s1
	s_cbranch_execz .LBB36_1013
; %bb.1012:
	s_waitcnt lgkmcnt(1)
	v_cmp_gt_f32_e32 vcc_lo, v1, v5
                                        ; implicit-def: $vgpr7
                                        ; implicit-def: $vgpr9
	v_cndmask_b32_e32 v5, v1, v5, vcc_lo
	s_waitcnt lgkmcnt(0)
	v_cmp_lt_f32_e32 vcc_lo, v2, v4
	v_cndmask_b32_e32 v4, v2, v4, vcc_lo
                                        ; implicit-def: $vgpr2
.LBB36_1013:
	s_or_saveexec_b32 s1, s1
	v_mov_b32_e32 v8, 1
	s_xor_b32 exec_lo, exec_lo, s1
	s_cbranch_execz .LBB36_1017
; %bb.1014:
	v_and_b32_e32 v8, 1, v9
	s_mov_b32 s4, exec_lo
	v_cmpx_eq_u32_e32 1, v8
	s_cbranch_execz .LBB36_1016
; %bb.1015:
	v_mov_b32_e32 v7, 1
	s_waitcnt lgkmcnt(0)
	v_mov_b32_e32 v4, v2
	v_mov_b32_e32 v5, v1
.LBB36_1016:
	s_or_b32 exec_lo, exec_lo, s4
	v_mov_b32_e32 v8, v7
.LBB36_1017:
	s_or_b32 exec_lo, exec_lo, s1
	v_cmp_gt_u32_e32 vcc_lo, 6, v6
	v_and_b32_e32 v2, 0xff, v8
	s_mov_b32 s1, exec_lo
	v_cndmask_b32_e64 v1, 0, 2, vcc_lo
	v_add_lshl_u32 v6, v1, v3, 2
	ds_bpermute_b32 v1, v6, v2
	s_waitcnt lgkmcnt(2)
	ds_bpermute_b32 v7, v6, v5
	s_waitcnt lgkmcnt(2)
	;; [unrolled: 2-line block ×3, first 2 shown]
	v_and_b32_e32 v2, v8, v1
	v_and_b32_e32 v2, 1, v2
	v_cmpx_eq_u32_e32 1, v2
	s_xor_b32 s1, exec_lo, s1
	s_cbranch_execz .LBB36_1019
; %bb.1018:
	s_waitcnt lgkmcnt(1)
	v_cmp_gt_f32_e32 vcc_lo, v5, v7
                                        ; implicit-def: $vgpr1
                                        ; implicit-def: $vgpr8
	v_cndmask_b32_e32 v7, v5, v7, vcc_lo
	s_waitcnt lgkmcnt(0)
	v_cmp_lt_f32_e32 vcc_lo, v4, v6
                                        ; implicit-def: $vgpr5
	v_cndmask_b32_e32 v6, v4, v6, vcc_lo
                                        ; implicit-def: $vgpr4
.LBB36_1019:
	s_or_saveexec_b32 s1, s1
	v_lshlrev_b32_e32 v2, 2, v3
	v_mov_b32_e32 v9, 1
	s_xor_b32 exec_lo, exec_lo, s1
	s_cbranch_execz .LBB36_1023
; %bb.1020:
	v_and_b32_e32 v3, 1, v8
	s_mov_b32 s4, exec_lo
	v_cmpx_eq_u32_e32 1, v3
	s_cbranch_execz .LBB36_1022
; %bb.1021:
	v_mov_b32_e32 v1, 1
	s_waitcnt lgkmcnt(0)
	v_mov_b32_e32 v6, v4
	v_mov_b32_e32 v7, v5
.LBB36_1022:
	s_or_b32 exec_lo, exec_lo, s4
	v_mov_b32_e32 v9, v1
.LBB36_1023:
	s_or_b32 exec_lo, exec_lo, s1
	v_and_b32_e32 v1, 0xff, v9
	v_or_b32_e32 v2, 16, v2
	s_mov_b32 s1, exec_lo
	ds_bpermute_b32 v3, v2, v1
	s_waitcnt lgkmcnt(2)
	ds_bpermute_b32 v1, v2, v7
	s_waitcnt lgkmcnt(2)
	;; [unrolled: 2-line block ×3, first 2 shown]
	v_and_b32_e32 v4, v9, v3
	v_and_b32_e32 v4, 1, v4
	v_cmpx_eq_u32_e32 1, v4
	s_xor_b32 s1, exec_lo, s1
	s_cbranch_execz .LBB36_1025
; %bb.1024:
	s_waitcnt lgkmcnt(1)
	v_cmp_gt_f32_e32 vcc_lo, v7, v1
                                        ; implicit-def: $vgpr3
                                        ; implicit-def: $vgpr9
	v_cndmask_b32_e32 v1, v7, v1, vcc_lo
	s_waitcnt lgkmcnt(0)
	v_cmp_lt_f32_e32 vcc_lo, v6, v2
                                        ; implicit-def: $vgpr7
	v_cndmask_b32_e32 v2, v6, v2, vcc_lo
                                        ; implicit-def: $vgpr6
.LBB36_1025:
	s_or_saveexec_b32 s1, s1
	v_mov_b32_e32 v5, 1
	s_xor_b32 exec_lo, exec_lo, s1
	s_cbranch_execz .LBB36_1029
; %bb.1026:
	v_and_b32_e32 v4, 1, v9
	s_mov_b32 s4, exec_lo
	v_cmpx_eq_u32_e32 1, v4
	s_cbranch_execz .LBB36_1028
; %bb.1027:
	v_mov_b32_e32 v3, 1
	s_waitcnt lgkmcnt(0)
	v_mov_b32_e32 v2, v6
	v_mov_b32_e32 v1, v7
.LBB36_1028:
	s_or_b32 exec_lo, exec_lo, s4
	v_mov_b32_e32 v5, v3
.LBB36_1029:
	s_or_b32 exec_lo, exec_lo, s1
.LBB36_1030:
	s_or_b32 exec_lo, exec_lo, s0
	s_branch .LBB36_1107
.LBB36_1031:
                                        ; implicit-def: $vgpr4
                                        ; implicit-def: $vgpr6
                                        ; implicit-def: $sgpr6_sgpr7
.LBB36_1032:
	s_and_saveexec_b32 s0, s10
	s_cbranch_execz .LBB36_1034
.LBB36_1033:
	s_mul_i32 s0, s7, 12
	s_mul_hi_u32 s1, s6, 12
	s_mul_i32 s2, s6, 12
	v_mov_b32_e32 v0, 0
	s_add_i32 s1, s1, s0
	s_add_u32 s0, s26, s2
	s_addc_u32 s1, s27, s1
	s_waitcnt lgkmcnt(0)
	global_store_byte v0, v6, s[0:1]
	global_store_dwordx2 v0, v[3:4], s[0:1] offset:4
.LBB36_1034:
	s_endpgm
.LBB36_1035:
                                        ; implicit-def: $vgpr2
                                        ; implicit-def: $vgpr5
	s_cbranch_execz .LBB36_1107
; %bb.1036:
	v_mov_b32_e32 v8, 0
	s_waitcnt lgkmcnt(0)
	v_mov_b32_e32 v2, 0
	s_sub_i32 s0, s24, s2
	s_mov_b32 s1, exec_lo
	v_cmpx_gt_u32_e64 s0, v0
	s_cbranch_execz .LBB36_1038
; %bb.1037:
	s_lshl_b64 s[4:5], s[2:3], 2
	v_lshlrev_b32_e32 v1, 2, v0
	s_add_u32 s4, s20, s4
	s_addc_u32 s5, s21, s5
	s_abs_i32 s3, s23
	v_add3_u32 v4, s29, s2, v0
	global_load_dword v2, v1, s[4:5]
	v_cvt_f32_u32_e32 v1, s3
	s_sub_i32 s4, 0, s3
	v_sub_nc_u32_e32 v5, 0, v4
	v_rcp_iflag_f32_e32 v1, v1
	v_max_i32_e32 v5, v4, v5
	v_ashrrev_i32_e32 v4, 31, v4
	v_mul_f32_e32 v1, 0x4f7ffffe, v1
	v_cvt_u32_f32_e32 v1, v1
	v_mul_lo_u32 v3, s4, v1
	v_mul_hi_u32 v3, v1, v3
	v_add_nc_u32_e32 v1, v1, v3
	v_mul_hi_u32 v1, v5, v1
	v_mul_lo_u32 v1, v1, s3
	v_sub_nc_u32_e32 v1, v5, v1
	v_subrev_nc_u32_e32 v3, s3, v1
	v_cmp_le_u32_e32 vcc_lo, s3, v1
	v_cndmask_b32_e32 v1, v1, v3, vcc_lo
	v_subrev_nc_u32_e32 v3, s3, v1
	v_cmp_le_u32_e32 vcc_lo, s3, v1
	v_cndmask_b32_e32 v1, v1, v3, vcc_lo
	v_xor_b32_e32 v1, v1, v4
	v_sub_nc_u32_e32 v1, v1, v4
	v_cmp_gt_i32_e32 vcc_lo, s22, v1
	v_cndmask_b32_e64 v8, 0, 1, vcc_lo
.LBB36_1038:
	s_or_b32 exec_lo, exec_lo, s1
	v_mbcnt_lo_u32_b32 v3, -1, 0
	v_and_b32_e32 v5, 0xffff, v8
	s_min_u32 s0, s0, 0x100
	s_waitcnt vmcnt(0)
	v_mov_b32_e32 v7, v2
	v_cmp_ne_u32_e32 vcc_lo, 31, v3
	v_add_co_ci_u32_e64 v1, null, 0, v3, vcc_lo
	v_lshlrev_b32_e32 v1, 2, v1
	ds_bpermute_b32 v9, v1, v5
	ds_bpermute_b32 v6, v1, v2
	v_and_b32_e32 v1, 0xe0, v0
	v_sub_nc_u32_e64 v4, s0, v1 clamp
	v_add_nc_u32_e32 v1, 1, v3
	v_cmp_lt_u32_e32 vcc_lo, v1, v4
	v_mov_b32_e32 v1, v2
	s_and_saveexec_b32 s1, vcc_lo
	s_cbranch_execz .LBB36_1046
; %bb.1039:
	s_waitcnt lgkmcnt(1)
	v_and_b32_e32 v1, v9, v5
	s_mov_b32 s2, exec_lo
	v_and_b32_e32 v1, 1, v1
	v_cmpx_eq_u32_e32 1, v1
	s_xor_b32 s2, exec_lo, s2
	s_cbranch_execz .LBB36_1041
; %bb.1040:
	s_waitcnt lgkmcnt(0)
	v_cmp_gt_f32_e32 vcc_lo, v2, v6
                                        ; implicit-def: $vgpr9
                                        ; implicit-def: $vgpr8
	v_cndmask_b32_e32 v1, v2, v6, vcc_lo
	v_cmp_lt_f32_e32 vcc_lo, v2, v6
	v_cndmask_b32_e32 v2, v2, v6, vcc_lo
	v_mov_b32_e32 v6, v1
.LBB36_1041:
	s_or_saveexec_b32 s2, s2
	v_mov_b32_e32 v1, 1
	s_xor_b32 exec_lo, exec_lo, s2
	s_cbranch_execz .LBB36_1045
; %bb.1042:
	v_and_b32_e32 v1, 1, v8
	s_mov_b32 s3, exec_lo
	v_cmpx_eq_u32_e32 1, v1
	s_cbranch_execz .LBB36_1044
; %bb.1043:
	v_mov_b32_e32 v9, 1
	s_waitcnt lgkmcnt(0)
	v_mov_b32_e32 v6, v2
.LBB36_1044:
	s_or_b32 exec_lo, exec_lo, s3
	v_mov_b32_e32 v1, v9
	s_waitcnt lgkmcnt(0)
	v_mov_b32_e32 v2, v6
.LBB36_1045:
	s_or_b32 exec_lo, exec_lo, s2
	v_and_b32_e32 v5, 0xff, v1
	s_waitcnt lgkmcnt(0)
	v_mov_b32_e32 v7, v6
	v_mov_b32_e32 v1, v6
.LBB36_1046:
	s_or_b32 exec_lo, exec_lo, s1
	v_cmp_gt_u32_e32 vcc_lo, 30, v3
	v_add_nc_u32_e32 v10, 2, v3
	s_mov_b32 s1, exec_lo
	s_waitcnt lgkmcnt(0)
	v_cndmask_b32_e64 v6, 0, 2, vcc_lo
	v_add_lshl_u32 v8, v6, v3, 2
	ds_bpermute_b32 v9, v8, v5
	ds_bpermute_b32 v6, v8, v7
	;; [unrolled: 1-line block ×3, first 2 shown]
	v_cmpx_lt_u32_e64 v10, v4
	s_cbranch_execz .LBB36_1054
; %bb.1047:
	s_waitcnt lgkmcnt(2)
	v_and_b32_e32 v7, v5, v9
	s_mov_b32 s2, exec_lo
	v_and_b32_e32 v7, 1, v7
	v_cmpx_eq_u32_e32 1, v7
	s_xor_b32 s2, exec_lo, s2
	s_cbranch_execz .LBB36_1049
; %bb.1048:
	s_waitcnt lgkmcnt(1)
	v_cmp_gt_f32_e32 vcc_lo, v1, v6
                                        ; implicit-def: $vgpr9
                                        ; implicit-def: $vgpr5
	v_cndmask_b32_e32 v6, v1, v6, vcc_lo
	s_waitcnt lgkmcnt(0)
	v_cmp_lt_f32_e32 vcc_lo, v2, v8
	v_cndmask_b32_e32 v8, v2, v8, vcc_lo
                                        ; implicit-def: $vgpr2
.LBB36_1049:
	s_or_saveexec_b32 s2, s2
	v_mov_b32_e32 v7, 1
	s_xor_b32 exec_lo, exec_lo, s2
	s_cbranch_execz .LBB36_1053
; %bb.1050:
	v_and_b32_e32 v5, 1, v5
	s_mov_b32 s3, exec_lo
	v_cmpx_eq_u32_e32 1, v5
	s_cbranch_execz .LBB36_1052
; %bb.1051:
	v_mov_b32_e32 v9, 1
	s_waitcnt lgkmcnt(0)
	v_mov_b32_e32 v8, v2
	v_mov_b32_e32 v6, v1
.LBB36_1052:
	s_or_b32 exec_lo, exec_lo, s3
	v_mov_b32_e32 v7, v9
.LBB36_1053:
	s_or_b32 exec_lo, exec_lo, s2
	v_and_b32_e32 v5, 0xff, v7
	s_waitcnt lgkmcnt(1)
	v_mov_b32_e32 v7, v6
	s_waitcnt lgkmcnt(0)
	v_mov_b32_e32 v2, v8
	v_mov_b32_e32 v1, v6
.LBB36_1054:
	s_or_b32 exec_lo, exec_lo, s1
	v_cmp_gt_u32_e32 vcc_lo, 28, v3
	v_add_nc_u32_e32 v10, 4, v3
	s_mov_b32 s1, exec_lo
	s_waitcnt lgkmcnt(1)
	v_cndmask_b32_e64 v6, 0, 4, vcc_lo
	s_waitcnt lgkmcnt(0)
	v_add_lshl_u32 v8, v6, v3, 2
	ds_bpermute_b32 v9, v8, v5
	ds_bpermute_b32 v6, v8, v7
	;; [unrolled: 1-line block ×3, first 2 shown]
	v_cmpx_lt_u32_e64 v10, v4
	s_cbranch_execz .LBB36_1062
; %bb.1055:
	s_waitcnt lgkmcnt(2)
	v_and_b32_e32 v7, v5, v9
	s_mov_b32 s2, exec_lo
	v_and_b32_e32 v7, 1, v7
	v_cmpx_eq_u32_e32 1, v7
	s_xor_b32 s2, exec_lo, s2
	s_cbranch_execz .LBB36_1057
; %bb.1056:
	s_waitcnt lgkmcnt(1)
	v_cmp_gt_f32_e32 vcc_lo, v1, v6
                                        ; implicit-def: $vgpr9
                                        ; implicit-def: $vgpr5
	v_cndmask_b32_e32 v6, v1, v6, vcc_lo
	s_waitcnt lgkmcnt(0)
	v_cmp_lt_f32_e32 vcc_lo, v2, v8
	v_cndmask_b32_e32 v8, v2, v8, vcc_lo
                                        ; implicit-def: $vgpr2
.LBB36_1057:
	s_or_saveexec_b32 s2, s2
	v_mov_b32_e32 v7, 1
	s_xor_b32 exec_lo, exec_lo, s2
	s_cbranch_execz .LBB36_1061
; %bb.1058:
	v_and_b32_e32 v5, 1, v5
	s_mov_b32 s3, exec_lo
	v_cmpx_eq_u32_e32 1, v5
	s_cbranch_execz .LBB36_1060
; %bb.1059:
	v_mov_b32_e32 v9, 1
	s_waitcnt lgkmcnt(0)
	v_mov_b32_e32 v8, v2
	v_mov_b32_e32 v6, v1
.LBB36_1060:
	s_or_b32 exec_lo, exec_lo, s3
	v_mov_b32_e32 v7, v9
.LBB36_1061:
	s_or_b32 exec_lo, exec_lo, s2
	v_and_b32_e32 v5, 0xff, v7
	s_waitcnt lgkmcnt(1)
	v_mov_b32_e32 v7, v6
	s_waitcnt lgkmcnt(0)
	v_mov_b32_e32 v2, v8
	v_mov_b32_e32 v1, v6
.LBB36_1062:
	s_or_b32 exec_lo, exec_lo, s1
	v_cmp_gt_u32_e32 vcc_lo, 24, v3
	v_add_nc_u32_e32 v10, 8, v3
	s_mov_b32 s1, exec_lo
	s_waitcnt lgkmcnt(1)
	v_cndmask_b32_e64 v6, 0, 8, vcc_lo
	s_waitcnt lgkmcnt(0)
	v_add_lshl_u32 v8, v6, v3, 2
	ds_bpermute_b32 v9, v8, v5
	ds_bpermute_b32 v6, v8, v7
	;; [unrolled: 1-line block ×3, first 2 shown]
	v_cmpx_lt_u32_e64 v10, v4
	s_cbranch_execz .LBB36_1070
; %bb.1063:
	s_waitcnt lgkmcnt(2)
	v_and_b32_e32 v7, v5, v9
	s_mov_b32 s2, exec_lo
	v_and_b32_e32 v7, 1, v7
	v_cmpx_eq_u32_e32 1, v7
	s_xor_b32 s2, exec_lo, s2
	s_cbranch_execz .LBB36_1065
; %bb.1064:
	s_waitcnt lgkmcnt(1)
	v_cmp_gt_f32_e32 vcc_lo, v1, v6
                                        ; implicit-def: $vgpr9
                                        ; implicit-def: $vgpr5
	v_cndmask_b32_e32 v6, v1, v6, vcc_lo
	s_waitcnt lgkmcnt(0)
	v_cmp_lt_f32_e32 vcc_lo, v2, v8
	v_cndmask_b32_e32 v8, v2, v8, vcc_lo
                                        ; implicit-def: $vgpr2
.LBB36_1065:
	s_or_saveexec_b32 s2, s2
	v_mov_b32_e32 v7, 1
	s_xor_b32 exec_lo, exec_lo, s2
	s_cbranch_execz .LBB36_1069
; %bb.1066:
	v_and_b32_e32 v5, 1, v5
	s_mov_b32 s3, exec_lo
	v_cmpx_eq_u32_e32 1, v5
	s_cbranch_execz .LBB36_1068
; %bb.1067:
	v_mov_b32_e32 v9, 1
	s_waitcnt lgkmcnt(0)
	v_mov_b32_e32 v8, v2
	v_mov_b32_e32 v6, v1
.LBB36_1068:
	s_or_b32 exec_lo, exec_lo, s3
	v_mov_b32_e32 v7, v9
.LBB36_1069:
	s_or_b32 exec_lo, exec_lo, s2
	v_and_b32_e32 v5, 0xff, v7
	s_waitcnt lgkmcnt(1)
	v_mov_b32_e32 v7, v6
	s_waitcnt lgkmcnt(0)
	v_mov_b32_e32 v2, v8
	v_mov_b32_e32 v1, v6
.LBB36_1070:
	s_or_b32 exec_lo, exec_lo, s1
	s_waitcnt lgkmcnt(1)
	v_lshlrev_b32_e32 v6, 2, v3
	v_add_nc_u32_e32 v10, 16, v3
	s_waitcnt lgkmcnt(0)
	v_or_b32_e32 v8, 64, v6
	v_cmp_lt_u32_e32 vcc_lo, v10, v4
	v_mov_b32_e32 v4, v5
	ds_bpermute_b32 v9, v8, v5
	ds_bpermute_b32 v7, v8, v7
	;; [unrolled: 1-line block ×3, first 2 shown]
	s_and_saveexec_b32 s1, vcc_lo
	s_cbranch_execz .LBB36_1078
; %bb.1071:
	s_waitcnt lgkmcnt(2)
	v_and_b32_e32 v4, v5, v9
	s_mov_b32 s2, exec_lo
	v_and_b32_e32 v4, 1, v4
	v_cmpx_eq_u32_e32 1, v4
	s_xor_b32 s2, exec_lo, s2
	s_cbranch_execz .LBB36_1073
; %bb.1072:
	s_waitcnt lgkmcnt(1)
	v_cmp_gt_f32_e32 vcc_lo, v1, v7
                                        ; implicit-def: $vgpr9
                                        ; implicit-def: $vgpr5
	v_cndmask_b32_e32 v7, v1, v7, vcc_lo
	s_waitcnt lgkmcnt(0)
	v_cmp_lt_f32_e32 vcc_lo, v2, v8
	v_cndmask_b32_e32 v8, v2, v8, vcc_lo
                                        ; implicit-def: $vgpr2
.LBB36_1073:
	s_or_saveexec_b32 s2, s2
	v_mov_b32_e32 v4, 1
	s_xor_b32 exec_lo, exec_lo, s2
	s_cbranch_execz .LBB36_1077
; %bb.1074:
	v_and_b32_e32 v4, 1, v5
	s_mov_b32 s3, exec_lo
	v_cmpx_eq_u32_e32 1, v4
	s_cbranch_execz .LBB36_1076
; %bb.1075:
	v_mov_b32_e32 v9, 1
	s_waitcnt lgkmcnt(0)
	v_mov_b32_e32 v8, v2
	v_mov_b32_e32 v7, v1
.LBB36_1076:
	s_or_b32 exec_lo, exec_lo, s3
	v_mov_b32_e32 v4, v9
.LBB36_1077:
	s_or_b32 exec_lo, exec_lo, s2
	v_and_b32_e32 v5, 0xff, v4
	s_waitcnt lgkmcnt(0)
	v_mov_b32_e32 v2, v8
	v_mov_b32_e32 v1, v7
.LBB36_1078:
	s_or_b32 exec_lo, exec_lo, s1
	s_mov_b32 s1, exec_lo
	v_cmpx_eq_u32_e32 0, v3
	s_cbranch_execz .LBB36_1080
; %bb.1079:
	s_waitcnt lgkmcnt(1)
	v_lshrrev_b32_e32 v7, 5, v0
	v_mul_u32_u24_e32 v7, 12, v7
	ds_write_b8 v7, v4
	ds_write2_b32 v7, v1, v2 offset0:1 offset1:2
.LBB36_1080:
	s_or_b32 exec_lo, exec_lo, s1
	s_mov_b32 s1, exec_lo
	s_waitcnt lgkmcnt(0)
	s_barrier
	buffer_gl0_inv
	v_cmpx_gt_u32_e32 8, v0
	s_cbranch_execz .LBB36_1106
; %bb.1081:
	v_mul_u32_u24_e32 v1, 12, v3
	v_and_b32_e32 v4, 7, v3
	s_add_i32 s0, s0, 31
	ds_read_u8 v10, v1
	ds_read2_b32 v[1:2], v1 offset0:1 offset1:2
	v_cmp_ne_u32_e32 vcc_lo, 7, v4
	v_add_nc_u32_e32 v11, 1, v4
	s_lshr_b32 s0, s0, 5
	v_add_co_ci_u32_e64 v5, null, 0, v3, vcc_lo
	v_cmp_gt_u32_e32 vcc_lo, s0, v11
	v_lshlrev_b32_e32 v8, 2, v5
	s_waitcnt lgkmcnt(1)
	v_and_b32_e32 v5, 0xff, v10
	s_waitcnt lgkmcnt(0)
	ds_bpermute_b32 v7, v8, v1
	v_mov_b32_e32 v11, v1
	v_mov_b32_e32 v12, v2
	ds_bpermute_b32 v9, v8, v5
	ds_bpermute_b32 v8, v8, v2
	s_and_saveexec_b32 s2, vcc_lo
	s_cbranch_execz .LBB36_1089
; %bb.1082:
	s_waitcnt lgkmcnt(1)
	v_and_b32_e32 v5, v5, v9
	s_mov_b32 s3, exec_lo
	v_and_b32_e32 v5, 1, v5
	v_cmpx_eq_u32_e32 1, v5
	s_xor_b32 s3, exec_lo, s3
	s_cbranch_execz .LBB36_1084
; %bb.1083:
	v_cmp_gt_f32_e32 vcc_lo, v1, v7
                                        ; implicit-def: $vgpr9
                                        ; implicit-def: $vgpr10
	v_cndmask_b32_e32 v7, v1, v7, vcc_lo
	s_waitcnt lgkmcnt(0)
	v_cmp_lt_f32_e32 vcc_lo, v2, v8
	v_cndmask_b32_e32 v8, v2, v8, vcc_lo
                                        ; implicit-def: $vgpr2
.LBB36_1084:
	s_or_saveexec_b32 s3, s3
	v_mov_b32_e32 v5, 1
	s_xor_b32 exec_lo, exec_lo, s3
	s_cbranch_execz .LBB36_1088
; %bb.1085:
	v_and_b32_e32 v5, 1, v10
	s_mov_b32 s4, exec_lo
	v_cmpx_eq_u32_e32 1, v5
	s_cbranch_execz .LBB36_1087
; %bb.1086:
	v_mov_b32_e32 v9, 1
	s_waitcnt lgkmcnt(0)
	v_mov_b32_e32 v8, v2
	v_mov_b32_e32 v7, v1
.LBB36_1087:
	s_or_b32 exec_lo, exec_lo, s4
	v_mov_b32_e32 v5, v9
.LBB36_1088:
	s_or_b32 exec_lo, exec_lo, s3
	v_and_b32_e32 v5, 0xff, v5
	v_mov_b32_e32 v11, v7
	s_waitcnt lgkmcnt(0)
	v_mov_b32_e32 v12, v8
	v_mov_b32_e32 v2, v8
	;; [unrolled: 1-line block ×3, first 2 shown]
.LBB36_1089:
	s_or_b32 exec_lo, exec_lo, s2
	v_cmp_gt_u32_e32 vcc_lo, 6, v4
	s_waitcnt lgkmcnt(1)
	v_add_nc_u32_e32 v9, 2, v4
	s_mov_b32 s2, exec_lo
	v_cndmask_b32_e64 v7, 0, 2, vcc_lo
	v_add_lshl_u32 v7, v7, v3, 2
	s_waitcnt lgkmcnt(0)
	ds_bpermute_b32 v8, v7, v5
	ds_bpermute_b32 v3, v7, v11
	;; [unrolled: 1-line block ×3, first 2 shown]
	v_cmpx_gt_u32_e64 s0, v9
	s_cbranch_execz .LBB36_1097
; %bb.1090:
	s_waitcnt lgkmcnt(2)
	v_and_b32_e32 v9, v5, v8
	s_mov_b32 s3, exec_lo
	v_and_b32_e32 v9, 1, v9
	v_cmpx_eq_u32_e32 1, v9
	s_xor_b32 s3, exec_lo, s3
	s_cbranch_execz .LBB36_1092
; %bb.1091:
	s_waitcnt lgkmcnt(1)
	v_cmp_gt_f32_e32 vcc_lo, v1, v3
                                        ; implicit-def: $vgpr8
                                        ; implicit-def: $vgpr5
	v_cndmask_b32_e32 v3, v1, v3, vcc_lo
	s_waitcnt lgkmcnt(0)
	v_cmp_lt_f32_e32 vcc_lo, v2, v7
	v_cndmask_b32_e32 v7, v2, v7, vcc_lo
                                        ; implicit-def: $vgpr2
.LBB36_1092:
	s_or_saveexec_b32 s3, s3
	v_mov_b32_e32 v9, 1
	s_xor_b32 exec_lo, exec_lo, s3
	s_cbranch_execz .LBB36_1096
; %bb.1093:
	v_and_b32_e32 v5, 1, v5
	s_mov_b32 s4, exec_lo
	v_cmpx_eq_u32_e32 1, v5
	s_cbranch_execz .LBB36_1095
; %bb.1094:
	v_mov_b32_e32 v8, 1
	s_waitcnt lgkmcnt(0)
	v_mov_b32_e32 v7, v2
	v_mov_b32_e32 v3, v1
.LBB36_1095:
	s_or_b32 exec_lo, exec_lo, s4
	v_mov_b32_e32 v9, v8
.LBB36_1096:
	s_or_b32 exec_lo, exec_lo, s3
	v_and_b32_e32 v5, 0xff, v9
	s_waitcnt lgkmcnt(1)
	v_mov_b32_e32 v11, v3
	s_waitcnt lgkmcnt(0)
	v_mov_b32_e32 v12, v7
	v_mov_b32_e32 v2, v7
	;; [unrolled: 1-line block ×3, first 2 shown]
.LBB36_1097:
	s_or_b32 exec_lo, exec_lo, s2
	v_or_b32_e32 v6, 16, v6
	v_add_nc_u32_e32 v4, 4, v4
	s_waitcnt lgkmcnt(0)
	ds_bpermute_b32 v7, v6, v5
	ds_bpermute_b32 v3, v6, v11
	;; [unrolled: 1-line block ×3, first 2 shown]
	v_cmp_gt_u32_e32 vcc_lo, s0, v4
	s_and_saveexec_b32 s0, vcc_lo
	s_cbranch_execz .LBB36_1105
; %bb.1098:
	s_waitcnt lgkmcnt(2)
	v_and_b32_e32 v4, v5, v7
	s_mov_b32 s2, exec_lo
	v_and_b32_e32 v4, 1, v4
	v_cmpx_eq_u32_e32 1, v4
	s_xor_b32 s2, exec_lo, s2
	s_cbranch_execz .LBB36_1100
; %bb.1099:
	s_waitcnt lgkmcnt(1)
	v_cmp_gt_f32_e32 vcc_lo, v1, v3
                                        ; implicit-def: $vgpr7
                                        ; implicit-def: $vgpr5
	v_cndmask_b32_e32 v3, v1, v3, vcc_lo
	s_waitcnt lgkmcnt(0)
	v_cmp_lt_f32_e32 vcc_lo, v2, v6
	v_cndmask_b32_e32 v6, v2, v6, vcc_lo
                                        ; implicit-def: $vgpr2
.LBB36_1100:
	s_or_saveexec_b32 s2, s2
	v_mov_b32_e32 v4, 1
	s_xor_b32 exec_lo, exec_lo, s2
	s_cbranch_execz .LBB36_1104
; %bb.1101:
	v_and_b32_e32 v4, 1, v5
	s_mov_b32 s3, exec_lo
	v_cmpx_eq_u32_e32 1, v4
	s_cbranch_execz .LBB36_1103
; %bb.1102:
	v_mov_b32_e32 v7, 1
	s_waitcnt lgkmcnt(0)
	v_mov_b32_e32 v6, v2
	v_mov_b32_e32 v3, v1
.LBB36_1103:
	s_or_b32 exec_lo, exec_lo, s3
	v_mov_b32_e32 v4, v7
.LBB36_1104:
	s_or_b32 exec_lo, exec_lo, s2
	s_waitcnt lgkmcnt(0)
	v_mov_b32_e32 v2, v6
	v_mov_b32_e32 v1, v3
	;; [unrolled: 1-line block ×3, first 2 shown]
.LBB36_1105:
	s_or_b32 exec_lo, exec_lo, s0
.LBB36_1106:
	s_or_b32 exec_lo, exec_lo, s1
.LBB36_1107:
	s_mov_b32 s0, exec_lo
                                        ; implicit-def: $vgpr4
                                        ; implicit-def: $vgpr6
	v_cmpx_eq_u32_e32 0, v0
	s_cbranch_execz .LBB36_1115
; %bb.1108:
	v_mov_b32_e32 v4, s19
	s_waitcnt lgkmcnt(1)
	v_mov_b32_e32 v3, s18
	s_waitcnt lgkmcnt(0)
	v_mov_b32_e32 v6, s30
	s_cmp_eq_u64 s[24:25], 0
	s_cbranch_scc1 .LBB36_1114
; %bb.1109:
	v_and_b32_e32 v0, 1, v5
	s_bitcmp1_b32 s30, 0
                                        ; implicit-def: $vgpr4
                                        ; implicit-def: $vgpr6
	s_cselect_b32 s1, -1, 0
	v_cmp_eq_u32_e32 vcc_lo, 1, v0
	s_and_b32 s2, s1, vcc_lo
	s_xor_b32 s2, s2, -1
	s_and_saveexec_b32 s3, s2
	s_xor_b32 s2, exec_lo, s3
; %bb.1110:
	v_cndmask_b32_e64 v6, v5, 1, s1
	v_cndmask_b32_e64 v3, v1, s18, s1
	;; [unrolled: 1-line block ×3, first 2 shown]
                                        ; implicit-def: $vgpr1
; %bb.1111:
	s_andn2_saveexec_b32 s1, s2
; %bb.1112:
	v_cmp_gt_f32_e32 vcc_lo, s18, v1
	v_mov_b32_e32 v6, 1
	v_cndmask_b32_e32 v3, s18, v1, vcc_lo
	v_cmp_lt_f32_e32 vcc_lo, s19, v2
	v_cndmask_b32_e32 v4, s19, v2, vcc_lo
; %bb.1113:
	s_or_b32 exec_lo, exec_lo, s1
.LBB36_1114:
	s_or_b32 s10, s10, exec_lo
.LBB36_1115:
	s_or_b32 exec_lo, exec_lo, s0
	s_and_saveexec_b32 s0, s10
	s_cbranch_execnz .LBB36_1033
	s_branch .LBB36_1034
	.section	.rodata,"a",@progbits
	.p2align	6, 0x0
	.amdhsa_kernel _ZN7rocprim17ROCPRIM_400000_NS6detail17trampoline_kernelINS0_14default_configENS1_22reduce_config_selectorIN6thrust23THRUST_200600_302600_NS5tupleIbffNS6_9null_typeES8_S8_S8_S8_S8_S8_EEEEZNS1_11reduce_implILb1ES3_NS6_11hip_rocprim26transform_input_iterator_tIS9_NS6_12zip_iteratorINS7_INS6_17counting_iteratorIiNS6_11use_defaultESG_SG_EENS6_6detail15normal_iteratorINS6_10device_ptrIfEEEES8_S8_S8_S8_S8_S8_S8_S8_EEEE15transform_tupleIifEEEPS9_S9_12reduce_tupleIifEEE10hipError_tPvRmT1_T2_T3_mT4_P12ihipStream_tbEUlT_E1_NS1_11comp_targetILNS1_3genE8ELNS1_11target_archE1030ELNS1_3gpuE2ELNS1_3repE0EEENS1_30default_config_static_selectorELNS0_4arch9wavefront6targetE0EEEvSY_
		.amdhsa_group_segment_fixed_size 576
		.amdhsa_private_segment_fixed_size 0
		.amdhsa_kernarg_size 64
		.amdhsa_user_sgpr_count 6
		.amdhsa_user_sgpr_private_segment_buffer 1
		.amdhsa_user_sgpr_dispatch_ptr 0
		.amdhsa_user_sgpr_queue_ptr 0
		.amdhsa_user_sgpr_kernarg_segment_ptr 1
		.amdhsa_user_sgpr_dispatch_id 0
		.amdhsa_user_sgpr_flat_scratch_init 0
		.amdhsa_user_sgpr_private_segment_size 0
		.amdhsa_wavefront_size32 1
		.amdhsa_uses_dynamic_stack 0
		.amdhsa_system_sgpr_private_segment_wavefront_offset 0
		.amdhsa_system_sgpr_workgroup_id_x 1
		.amdhsa_system_sgpr_workgroup_id_y 0
		.amdhsa_system_sgpr_workgroup_id_z 0
		.amdhsa_system_sgpr_workgroup_info 0
		.amdhsa_system_vgpr_workitem_id 0
		.amdhsa_next_free_vgpr 36
		.amdhsa_next_free_sgpr 38
		.amdhsa_reserve_vcc 1
		.amdhsa_reserve_flat_scratch 0
		.amdhsa_float_round_mode_32 0
		.amdhsa_float_round_mode_16_64 0
		.amdhsa_float_denorm_mode_32 3
		.amdhsa_float_denorm_mode_16_64 3
		.amdhsa_dx10_clamp 1
		.amdhsa_ieee_mode 1
		.amdhsa_fp16_overflow 0
		.amdhsa_workgroup_processor_mode 1
		.amdhsa_memory_ordered 1
		.amdhsa_forward_progress 1
		.amdhsa_shared_vgpr_count 0
		.amdhsa_exception_fp_ieee_invalid_op 0
		.amdhsa_exception_fp_denorm_src 0
		.amdhsa_exception_fp_ieee_div_zero 0
		.amdhsa_exception_fp_ieee_overflow 0
		.amdhsa_exception_fp_ieee_underflow 0
		.amdhsa_exception_fp_ieee_inexact 0
		.amdhsa_exception_int_div_zero 0
	.end_amdhsa_kernel
	.section	.text._ZN7rocprim17ROCPRIM_400000_NS6detail17trampoline_kernelINS0_14default_configENS1_22reduce_config_selectorIN6thrust23THRUST_200600_302600_NS5tupleIbffNS6_9null_typeES8_S8_S8_S8_S8_S8_EEEEZNS1_11reduce_implILb1ES3_NS6_11hip_rocprim26transform_input_iterator_tIS9_NS6_12zip_iteratorINS7_INS6_17counting_iteratorIiNS6_11use_defaultESG_SG_EENS6_6detail15normal_iteratorINS6_10device_ptrIfEEEES8_S8_S8_S8_S8_S8_S8_S8_EEEE15transform_tupleIifEEEPS9_S9_12reduce_tupleIifEEE10hipError_tPvRmT1_T2_T3_mT4_P12ihipStream_tbEUlT_E1_NS1_11comp_targetILNS1_3genE8ELNS1_11target_archE1030ELNS1_3gpuE2ELNS1_3repE0EEENS1_30default_config_static_selectorELNS0_4arch9wavefront6targetE0EEEvSY_,"axG",@progbits,_ZN7rocprim17ROCPRIM_400000_NS6detail17trampoline_kernelINS0_14default_configENS1_22reduce_config_selectorIN6thrust23THRUST_200600_302600_NS5tupleIbffNS6_9null_typeES8_S8_S8_S8_S8_S8_EEEEZNS1_11reduce_implILb1ES3_NS6_11hip_rocprim26transform_input_iterator_tIS9_NS6_12zip_iteratorINS7_INS6_17counting_iteratorIiNS6_11use_defaultESG_SG_EENS6_6detail15normal_iteratorINS6_10device_ptrIfEEEES8_S8_S8_S8_S8_S8_S8_S8_EEEE15transform_tupleIifEEEPS9_S9_12reduce_tupleIifEEE10hipError_tPvRmT1_T2_T3_mT4_P12ihipStream_tbEUlT_E1_NS1_11comp_targetILNS1_3genE8ELNS1_11target_archE1030ELNS1_3gpuE2ELNS1_3repE0EEENS1_30default_config_static_selectorELNS0_4arch9wavefront6targetE0EEEvSY_,comdat
.Lfunc_end36:
	.size	_ZN7rocprim17ROCPRIM_400000_NS6detail17trampoline_kernelINS0_14default_configENS1_22reduce_config_selectorIN6thrust23THRUST_200600_302600_NS5tupleIbffNS6_9null_typeES8_S8_S8_S8_S8_S8_EEEEZNS1_11reduce_implILb1ES3_NS6_11hip_rocprim26transform_input_iterator_tIS9_NS6_12zip_iteratorINS7_INS6_17counting_iteratorIiNS6_11use_defaultESG_SG_EENS6_6detail15normal_iteratorINS6_10device_ptrIfEEEES8_S8_S8_S8_S8_S8_S8_S8_EEEE15transform_tupleIifEEEPS9_S9_12reduce_tupleIifEEE10hipError_tPvRmT1_T2_T3_mT4_P12ihipStream_tbEUlT_E1_NS1_11comp_targetILNS1_3genE8ELNS1_11target_archE1030ELNS1_3gpuE2ELNS1_3repE0EEENS1_30default_config_static_selectorELNS0_4arch9wavefront6targetE0EEEvSY_, .Lfunc_end36-_ZN7rocprim17ROCPRIM_400000_NS6detail17trampoline_kernelINS0_14default_configENS1_22reduce_config_selectorIN6thrust23THRUST_200600_302600_NS5tupleIbffNS6_9null_typeES8_S8_S8_S8_S8_S8_EEEEZNS1_11reduce_implILb1ES3_NS6_11hip_rocprim26transform_input_iterator_tIS9_NS6_12zip_iteratorINS7_INS6_17counting_iteratorIiNS6_11use_defaultESG_SG_EENS6_6detail15normal_iteratorINS6_10device_ptrIfEEEES8_S8_S8_S8_S8_S8_S8_S8_EEEE15transform_tupleIifEEEPS9_S9_12reduce_tupleIifEEE10hipError_tPvRmT1_T2_T3_mT4_P12ihipStream_tbEUlT_E1_NS1_11comp_targetILNS1_3genE8ELNS1_11target_archE1030ELNS1_3gpuE2ELNS1_3repE0EEENS1_30default_config_static_selectorELNS0_4arch9wavefront6targetE0EEEvSY_
                                        ; -- End function
	.set _ZN7rocprim17ROCPRIM_400000_NS6detail17trampoline_kernelINS0_14default_configENS1_22reduce_config_selectorIN6thrust23THRUST_200600_302600_NS5tupleIbffNS6_9null_typeES8_S8_S8_S8_S8_S8_EEEEZNS1_11reduce_implILb1ES3_NS6_11hip_rocprim26transform_input_iterator_tIS9_NS6_12zip_iteratorINS7_INS6_17counting_iteratorIiNS6_11use_defaultESG_SG_EENS6_6detail15normal_iteratorINS6_10device_ptrIfEEEES8_S8_S8_S8_S8_S8_S8_S8_EEEE15transform_tupleIifEEEPS9_S9_12reduce_tupleIifEEE10hipError_tPvRmT1_T2_T3_mT4_P12ihipStream_tbEUlT_E1_NS1_11comp_targetILNS1_3genE8ELNS1_11target_archE1030ELNS1_3gpuE2ELNS1_3repE0EEENS1_30default_config_static_selectorELNS0_4arch9wavefront6targetE0EEEvSY_.num_vgpr, 36
	.set _ZN7rocprim17ROCPRIM_400000_NS6detail17trampoline_kernelINS0_14default_configENS1_22reduce_config_selectorIN6thrust23THRUST_200600_302600_NS5tupleIbffNS6_9null_typeES8_S8_S8_S8_S8_S8_EEEEZNS1_11reduce_implILb1ES3_NS6_11hip_rocprim26transform_input_iterator_tIS9_NS6_12zip_iteratorINS7_INS6_17counting_iteratorIiNS6_11use_defaultESG_SG_EENS6_6detail15normal_iteratorINS6_10device_ptrIfEEEES8_S8_S8_S8_S8_S8_S8_S8_EEEE15transform_tupleIifEEEPS9_S9_12reduce_tupleIifEEE10hipError_tPvRmT1_T2_T3_mT4_P12ihipStream_tbEUlT_E1_NS1_11comp_targetILNS1_3genE8ELNS1_11target_archE1030ELNS1_3gpuE2ELNS1_3repE0EEENS1_30default_config_static_selectorELNS0_4arch9wavefront6targetE0EEEvSY_.num_agpr, 0
	.set _ZN7rocprim17ROCPRIM_400000_NS6detail17trampoline_kernelINS0_14default_configENS1_22reduce_config_selectorIN6thrust23THRUST_200600_302600_NS5tupleIbffNS6_9null_typeES8_S8_S8_S8_S8_S8_EEEEZNS1_11reduce_implILb1ES3_NS6_11hip_rocprim26transform_input_iterator_tIS9_NS6_12zip_iteratorINS7_INS6_17counting_iteratorIiNS6_11use_defaultESG_SG_EENS6_6detail15normal_iteratorINS6_10device_ptrIfEEEES8_S8_S8_S8_S8_S8_S8_S8_EEEE15transform_tupleIifEEEPS9_S9_12reduce_tupleIifEEE10hipError_tPvRmT1_T2_T3_mT4_P12ihipStream_tbEUlT_E1_NS1_11comp_targetILNS1_3genE8ELNS1_11target_archE1030ELNS1_3gpuE2ELNS1_3repE0EEENS1_30default_config_static_selectorELNS0_4arch9wavefront6targetE0EEEvSY_.numbered_sgpr, 38
	.set _ZN7rocprim17ROCPRIM_400000_NS6detail17trampoline_kernelINS0_14default_configENS1_22reduce_config_selectorIN6thrust23THRUST_200600_302600_NS5tupleIbffNS6_9null_typeES8_S8_S8_S8_S8_S8_EEEEZNS1_11reduce_implILb1ES3_NS6_11hip_rocprim26transform_input_iterator_tIS9_NS6_12zip_iteratorINS7_INS6_17counting_iteratorIiNS6_11use_defaultESG_SG_EENS6_6detail15normal_iteratorINS6_10device_ptrIfEEEES8_S8_S8_S8_S8_S8_S8_S8_EEEE15transform_tupleIifEEEPS9_S9_12reduce_tupleIifEEE10hipError_tPvRmT1_T2_T3_mT4_P12ihipStream_tbEUlT_E1_NS1_11comp_targetILNS1_3genE8ELNS1_11target_archE1030ELNS1_3gpuE2ELNS1_3repE0EEENS1_30default_config_static_selectorELNS0_4arch9wavefront6targetE0EEEvSY_.num_named_barrier, 0
	.set _ZN7rocprim17ROCPRIM_400000_NS6detail17trampoline_kernelINS0_14default_configENS1_22reduce_config_selectorIN6thrust23THRUST_200600_302600_NS5tupleIbffNS6_9null_typeES8_S8_S8_S8_S8_S8_EEEEZNS1_11reduce_implILb1ES3_NS6_11hip_rocprim26transform_input_iterator_tIS9_NS6_12zip_iteratorINS7_INS6_17counting_iteratorIiNS6_11use_defaultESG_SG_EENS6_6detail15normal_iteratorINS6_10device_ptrIfEEEES8_S8_S8_S8_S8_S8_S8_S8_EEEE15transform_tupleIifEEEPS9_S9_12reduce_tupleIifEEE10hipError_tPvRmT1_T2_T3_mT4_P12ihipStream_tbEUlT_E1_NS1_11comp_targetILNS1_3genE8ELNS1_11target_archE1030ELNS1_3gpuE2ELNS1_3repE0EEENS1_30default_config_static_selectorELNS0_4arch9wavefront6targetE0EEEvSY_.private_seg_size, 0
	.set _ZN7rocprim17ROCPRIM_400000_NS6detail17trampoline_kernelINS0_14default_configENS1_22reduce_config_selectorIN6thrust23THRUST_200600_302600_NS5tupleIbffNS6_9null_typeES8_S8_S8_S8_S8_S8_EEEEZNS1_11reduce_implILb1ES3_NS6_11hip_rocprim26transform_input_iterator_tIS9_NS6_12zip_iteratorINS7_INS6_17counting_iteratorIiNS6_11use_defaultESG_SG_EENS6_6detail15normal_iteratorINS6_10device_ptrIfEEEES8_S8_S8_S8_S8_S8_S8_S8_EEEE15transform_tupleIifEEEPS9_S9_12reduce_tupleIifEEE10hipError_tPvRmT1_T2_T3_mT4_P12ihipStream_tbEUlT_E1_NS1_11comp_targetILNS1_3genE8ELNS1_11target_archE1030ELNS1_3gpuE2ELNS1_3repE0EEENS1_30default_config_static_selectorELNS0_4arch9wavefront6targetE0EEEvSY_.uses_vcc, 1
	.set _ZN7rocprim17ROCPRIM_400000_NS6detail17trampoline_kernelINS0_14default_configENS1_22reduce_config_selectorIN6thrust23THRUST_200600_302600_NS5tupleIbffNS6_9null_typeES8_S8_S8_S8_S8_S8_EEEEZNS1_11reduce_implILb1ES3_NS6_11hip_rocprim26transform_input_iterator_tIS9_NS6_12zip_iteratorINS7_INS6_17counting_iteratorIiNS6_11use_defaultESG_SG_EENS6_6detail15normal_iteratorINS6_10device_ptrIfEEEES8_S8_S8_S8_S8_S8_S8_S8_EEEE15transform_tupleIifEEEPS9_S9_12reduce_tupleIifEEE10hipError_tPvRmT1_T2_T3_mT4_P12ihipStream_tbEUlT_E1_NS1_11comp_targetILNS1_3genE8ELNS1_11target_archE1030ELNS1_3gpuE2ELNS1_3repE0EEENS1_30default_config_static_selectorELNS0_4arch9wavefront6targetE0EEEvSY_.uses_flat_scratch, 0
	.set _ZN7rocprim17ROCPRIM_400000_NS6detail17trampoline_kernelINS0_14default_configENS1_22reduce_config_selectorIN6thrust23THRUST_200600_302600_NS5tupleIbffNS6_9null_typeES8_S8_S8_S8_S8_S8_EEEEZNS1_11reduce_implILb1ES3_NS6_11hip_rocprim26transform_input_iterator_tIS9_NS6_12zip_iteratorINS7_INS6_17counting_iteratorIiNS6_11use_defaultESG_SG_EENS6_6detail15normal_iteratorINS6_10device_ptrIfEEEES8_S8_S8_S8_S8_S8_S8_S8_EEEE15transform_tupleIifEEEPS9_S9_12reduce_tupleIifEEE10hipError_tPvRmT1_T2_T3_mT4_P12ihipStream_tbEUlT_E1_NS1_11comp_targetILNS1_3genE8ELNS1_11target_archE1030ELNS1_3gpuE2ELNS1_3repE0EEENS1_30default_config_static_selectorELNS0_4arch9wavefront6targetE0EEEvSY_.has_dyn_sized_stack, 0
	.set _ZN7rocprim17ROCPRIM_400000_NS6detail17trampoline_kernelINS0_14default_configENS1_22reduce_config_selectorIN6thrust23THRUST_200600_302600_NS5tupleIbffNS6_9null_typeES8_S8_S8_S8_S8_S8_EEEEZNS1_11reduce_implILb1ES3_NS6_11hip_rocprim26transform_input_iterator_tIS9_NS6_12zip_iteratorINS7_INS6_17counting_iteratorIiNS6_11use_defaultESG_SG_EENS6_6detail15normal_iteratorINS6_10device_ptrIfEEEES8_S8_S8_S8_S8_S8_S8_S8_EEEE15transform_tupleIifEEEPS9_S9_12reduce_tupleIifEEE10hipError_tPvRmT1_T2_T3_mT4_P12ihipStream_tbEUlT_E1_NS1_11comp_targetILNS1_3genE8ELNS1_11target_archE1030ELNS1_3gpuE2ELNS1_3repE0EEENS1_30default_config_static_selectorELNS0_4arch9wavefront6targetE0EEEvSY_.has_recursion, 0
	.set _ZN7rocprim17ROCPRIM_400000_NS6detail17trampoline_kernelINS0_14default_configENS1_22reduce_config_selectorIN6thrust23THRUST_200600_302600_NS5tupleIbffNS6_9null_typeES8_S8_S8_S8_S8_S8_EEEEZNS1_11reduce_implILb1ES3_NS6_11hip_rocprim26transform_input_iterator_tIS9_NS6_12zip_iteratorINS7_INS6_17counting_iteratorIiNS6_11use_defaultESG_SG_EENS6_6detail15normal_iteratorINS6_10device_ptrIfEEEES8_S8_S8_S8_S8_S8_S8_S8_EEEE15transform_tupleIifEEEPS9_S9_12reduce_tupleIifEEE10hipError_tPvRmT1_T2_T3_mT4_P12ihipStream_tbEUlT_E1_NS1_11comp_targetILNS1_3genE8ELNS1_11target_archE1030ELNS1_3gpuE2ELNS1_3repE0EEENS1_30default_config_static_selectorELNS0_4arch9wavefront6targetE0EEEvSY_.has_indirect_call, 0
	.section	.AMDGPU.csdata,"",@progbits
; Kernel info:
; codeLenInByte = 31668
; TotalNumSgprs: 40
; NumVgprs: 36
; ScratchSize: 0
; MemoryBound: 0
; FloatMode: 240
; IeeeMode: 1
; LDSByteSize: 576 bytes/workgroup (compile time only)
; SGPRBlocks: 0
; VGPRBlocks: 4
; NumSGPRsForWavesPerEU: 40
; NumVGPRsForWavesPerEU: 36
; Occupancy: 16
; WaveLimiterHint : 1
; COMPUTE_PGM_RSRC2:SCRATCH_EN: 0
; COMPUTE_PGM_RSRC2:USER_SGPR: 6
; COMPUTE_PGM_RSRC2:TRAP_HANDLER: 0
; COMPUTE_PGM_RSRC2:TGID_X_EN: 1
; COMPUTE_PGM_RSRC2:TGID_Y_EN: 0
; COMPUTE_PGM_RSRC2:TGID_Z_EN: 0
; COMPUTE_PGM_RSRC2:TIDIG_COMP_CNT: 0
	.section	.text._ZN6thrust23THRUST_200600_302600_NS11hip_rocprim14__parallel_for6kernelILj256ENS1_10for_each_fINS0_7pointerINS0_5tupleIbffNS0_9null_typeES7_S7_S7_S7_S7_S7_EENS1_3tagENS0_11use_defaultESA_EENS0_6detail16wrapped_functionINSC_23allocator_traits_detail24construct1_via_allocatorINSC_18no_throw_allocatorINSC_19temporary_allocatorIS8_S9_EEEEEEvEEEEmLj1EEEvT0_T1_SO_,"axG",@progbits,_ZN6thrust23THRUST_200600_302600_NS11hip_rocprim14__parallel_for6kernelILj256ENS1_10for_each_fINS0_7pointerINS0_5tupleIbffNS0_9null_typeES7_S7_S7_S7_S7_S7_EENS1_3tagENS0_11use_defaultESA_EENS0_6detail16wrapped_functionINSC_23allocator_traits_detail24construct1_via_allocatorINSC_18no_throw_allocatorINSC_19temporary_allocatorIS8_S9_EEEEEEvEEEEmLj1EEEvT0_T1_SO_,comdat
	.protected	_ZN6thrust23THRUST_200600_302600_NS11hip_rocprim14__parallel_for6kernelILj256ENS1_10for_each_fINS0_7pointerINS0_5tupleIbffNS0_9null_typeES7_S7_S7_S7_S7_S7_EENS1_3tagENS0_11use_defaultESA_EENS0_6detail16wrapped_functionINSC_23allocator_traits_detail24construct1_via_allocatorINSC_18no_throw_allocatorINSC_19temporary_allocatorIS8_S9_EEEEEEvEEEEmLj1EEEvT0_T1_SO_ ; -- Begin function _ZN6thrust23THRUST_200600_302600_NS11hip_rocprim14__parallel_for6kernelILj256ENS1_10for_each_fINS0_7pointerINS0_5tupleIbffNS0_9null_typeES7_S7_S7_S7_S7_S7_EENS1_3tagENS0_11use_defaultESA_EENS0_6detail16wrapped_functionINSC_23allocator_traits_detail24construct1_via_allocatorINSC_18no_throw_allocatorINSC_19temporary_allocatorIS8_S9_EEEEEEvEEEEmLj1EEEvT0_T1_SO_
	.globl	_ZN6thrust23THRUST_200600_302600_NS11hip_rocprim14__parallel_for6kernelILj256ENS1_10for_each_fINS0_7pointerINS0_5tupleIbffNS0_9null_typeES7_S7_S7_S7_S7_S7_EENS1_3tagENS0_11use_defaultESA_EENS0_6detail16wrapped_functionINSC_23allocator_traits_detail24construct1_via_allocatorINSC_18no_throw_allocatorINSC_19temporary_allocatorIS8_S9_EEEEEEvEEEEmLj1EEEvT0_T1_SO_
	.p2align	8
	.type	_ZN6thrust23THRUST_200600_302600_NS11hip_rocprim14__parallel_for6kernelILj256ENS1_10for_each_fINS0_7pointerINS0_5tupleIbffNS0_9null_typeES7_S7_S7_S7_S7_S7_EENS1_3tagENS0_11use_defaultESA_EENS0_6detail16wrapped_functionINSC_23allocator_traits_detail24construct1_via_allocatorINSC_18no_throw_allocatorINSC_19temporary_allocatorIS8_S9_EEEEEEvEEEEmLj1EEEvT0_T1_SO_,@function
_ZN6thrust23THRUST_200600_302600_NS11hip_rocprim14__parallel_for6kernelILj256ENS1_10for_each_fINS0_7pointerINS0_5tupleIbffNS0_9null_typeES7_S7_S7_S7_S7_S7_EENS1_3tagENS0_11use_defaultESA_EENS0_6detail16wrapped_functionINSC_23allocator_traits_detail24construct1_via_allocatorINSC_18no_throw_allocatorINSC_19temporary_allocatorIS8_S9_EEEEEEvEEEEmLj1EEEvT0_T1_SO_: ; @_ZN6thrust23THRUST_200600_302600_NS11hip_rocprim14__parallel_for6kernelILj256ENS1_10for_each_fINS0_7pointerINS0_5tupleIbffNS0_9null_typeES7_S7_S7_S7_S7_S7_EENS1_3tagENS0_11use_defaultESA_EENS0_6detail16wrapped_functionINSC_23allocator_traits_detail24construct1_via_allocatorINSC_18no_throw_allocatorINSC_19temporary_allocatorIS8_S9_EEEEEEvEEEEmLj1EEEvT0_T1_SO_
; %bb.0:
	s_clause 0x1
	s_load_dwordx4 s[8:11], s[4:5], 0x10
	s_load_dwordx2 s[0:1], s[4:5], 0x0
	s_lshl_b32 s2, s6, 8
	s_waitcnt lgkmcnt(0)
	s_add_u32 s4, s10, s2
	s_addc_u32 s5, s11, 0
	s_sub_u32 s2, s8, s4
	s_subb_u32 s3, s9, s5
	v_cmp_lt_u64_e64 s3, 0xff, s[2:3]
	s_and_b32 vcc_lo, exec_lo, s3
	s_mov_b32 s3, -1
	s_cbranch_vccz .LBB37_3
; %bb.1:
	s_andn2_b32 vcc_lo, exec_lo, s3
	s_cbranch_vccz .LBB37_6
.LBB37_2:
	s_endpgm
.LBB37_3:
	v_cmp_gt_u32_e32 vcc_lo, s2, v0
	s_and_saveexec_b32 s2, vcc_lo
	s_cbranch_execz .LBB37_5
; %bb.4:
	s_mul_i32 s3, s5, 12
	s_mul_hi_u32 s6, s4, 12
	s_mul_i32 s7, s4, 12
	s_add_i32 s3, s6, s3
	s_add_u32 s6, s0, s7
	s_addc_u32 s7, s1, s3
	v_mov_b32_e32 v1, 0
	v_mad_u64_u32 v[3:4], null, v0, 12, s[6:7]
	v_mov_b32_e32 v2, v1
	flat_store_byte v[3:4], v1
	flat_store_dwordx2 v[3:4], v[1:2] offset:4
.LBB37_5:
	s_or_b32 exec_lo, exec_lo, s2
	s_cbranch_execnz .LBB37_2
.LBB37_6:
	s_mul_i32 s5, s5, 12
	s_mul_hi_u32 s2, s4, 12
	s_mul_i32 s4, s4, 12
	s_add_i32 s2, s2, s5
	s_add_u32 s0, s0, s4
	s_addc_u32 s1, s1, s2
	v_mov_b32_e32 v1, 0
	v_mad_u64_u32 v[3:4], null, v0, 12, s[0:1]
	v_mov_b32_e32 v2, v1
	flat_store_byte v[3:4], v1
	flat_store_dwordx2 v[3:4], v[1:2] offset:4
	s_endpgm
	.section	.rodata,"a",@progbits
	.p2align	6, 0x0
	.amdhsa_kernel _ZN6thrust23THRUST_200600_302600_NS11hip_rocprim14__parallel_for6kernelILj256ENS1_10for_each_fINS0_7pointerINS0_5tupleIbffNS0_9null_typeES7_S7_S7_S7_S7_S7_EENS1_3tagENS0_11use_defaultESA_EENS0_6detail16wrapped_functionINSC_23allocator_traits_detail24construct1_via_allocatorINSC_18no_throw_allocatorINSC_19temporary_allocatorIS8_S9_EEEEEEvEEEEmLj1EEEvT0_T1_SO_
		.amdhsa_group_segment_fixed_size 0
		.amdhsa_private_segment_fixed_size 0
		.amdhsa_kernarg_size 32
		.amdhsa_user_sgpr_count 6
		.amdhsa_user_sgpr_private_segment_buffer 1
		.amdhsa_user_sgpr_dispatch_ptr 0
		.amdhsa_user_sgpr_queue_ptr 0
		.amdhsa_user_sgpr_kernarg_segment_ptr 1
		.amdhsa_user_sgpr_dispatch_id 0
		.amdhsa_user_sgpr_flat_scratch_init 0
		.amdhsa_user_sgpr_private_segment_size 0
		.amdhsa_wavefront_size32 1
		.amdhsa_uses_dynamic_stack 0
		.amdhsa_system_sgpr_private_segment_wavefront_offset 0
		.amdhsa_system_sgpr_workgroup_id_x 1
		.amdhsa_system_sgpr_workgroup_id_y 0
		.amdhsa_system_sgpr_workgroup_id_z 0
		.amdhsa_system_sgpr_workgroup_info 0
		.amdhsa_system_vgpr_workitem_id 0
		.amdhsa_next_free_vgpr 5
		.amdhsa_next_free_sgpr 12
		.amdhsa_reserve_vcc 1
		.amdhsa_reserve_flat_scratch 0
		.amdhsa_float_round_mode_32 0
		.amdhsa_float_round_mode_16_64 0
		.amdhsa_float_denorm_mode_32 3
		.amdhsa_float_denorm_mode_16_64 3
		.amdhsa_dx10_clamp 1
		.amdhsa_ieee_mode 1
		.amdhsa_fp16_overflow 0
		.amdhsa_workgroup_processor_mode 1
		.amdhsa_memory_ordered 1
		.amdhsa_forward_progress 1
		.amdhsa_shared_vgpr_count 0
		.amdhsa_exception_fp_ieee_invalid_op 0
		.amdhsa_exception_fp_denorm_src 0
		.amdhsa_exception_fp_ieee_div_zero 0
		.amdhsa_exception_fp_ieee_overflow 0
		.amdhsa_exception_fp_ieee_underflow 0
		.amdhsa_exception_fp_ieee_inexact 0
		.amdhsa_exception_int_div_zero 0
	.end_amdhsa_kernel
	.section	.text._ZN6thrust23THRUST_200600_302600_NS11hip_rocprim14__parallel_for6kernelILj256ENS1_10for_each_fINS0_7pointerINS0_5tupleIbffNS0_9null_typeES7_S7_S7_S7_S7_S7_EENS1_3tagENS0_11use_defaultESA_EENS0_6detail16wrapped_functionINSC_23allocator_traits_detail24construct1_via_allocatorINSC_18no_throw_allocatorINSC_19temporary_allocatorIS8_S9_EEEEEEvEEEEmLj1EEEvT0_T1_SO_,"axG",@progbits,_ZN6thrust23THRUST_200600_302600_NS11hip_rocprim14__parallel_for6kernelILj256ENS1_10for_each_fINS0_7pointerINS0_5tupleIbffNS0_9null_typeES7_S7_S7_S7_S7_S7_EENS1_3tagENS0_11use_defaultESA_EENS0_6detail16wrapped_functionINSC_23allocator_traits_detail24construct1_via_allocatorINSC_18no_throw_allocatorINSC_19temporary_allocatorIS8_S9_EEEEEEvEEEEmLj1EEEvT0_T1_SO_,comdat
.Lfunc_end37:
	.size	_ZN6thrust23THRUST_200600_302600_NS11hip_rocprim14__parallel_for6kernelILj256ENS1_10for_each_fINS0_7pointerINS0_5tupleIbffNS0_9null_typeES7_S7_S7_S7_S7_S7_EENS1_3tagENS0_11use_defaultESA_EENS0_6detail16wrapped_functionINSC_23allocator_traits_detail24construct1_via_allocatorINSC_18no_throw_allocatorINSC_19temporary_allocatorIS8_S9_EEEEEEvEEEEmLj1EEEvT0_T1_SO_, .Lfunc_end37-_ZN6thrust23THRUST_200600_302600_NS11hip_rocprim14__parallel_for6kernelILj256ENS1_10for_each_fINS0_7pointerINS0_5tupleIbffNS0_9null_typeES7_S7_S7_S7_S7_S7_EENS1_3tagENS0_11use_defaultESA_EENS0_6detail16wrapped_functionINSC_23allocator_traits_detail24construct1_via_allocatorINSC_18no_throw_allocatorINSC_19temporary_allocatorIS8_S9_EEEEEEvEEEEmLj1EEEvT0_T1_SO_
                                        ; -- End function
	.set _ZN6thrust23THRUST_200600_302600_NS11hip_rocprim14__parallel_for6kernelILj256ENS1_10for_each_fINS0_7pointerINS0_5tupleIbffNS0_9null_typeES7_S7_S7_S7_S7_S7_EENS1_3tagENS0_11use_defaultESA_EENS0_6detail16wrapped_functionINSC_23allocator_traits_detail24construct1_via_allocatorINSC_18no_throw_allocatorINSC_19temporary_allocatorIS8_S9_EEEEEEvEEEEmLj1EEEvT0_T1_SO_.num_vgpr, 5
	.set _ZN6thrust23THRUST_200600_302600_NS11hip_rocprim14__parallel_for6kernelILj256ENS1_10for_each_fINS0_7pointerINS0_5tupleIbffNS0_9null_typeES7_S7_S7_S7_S7_S7_EENS1_3tagENS0_11use_defaultESA_EENS0_6detail16wrapped_functionINSC_23allocator_traits_detail24construct1_via_allocatorINSC_18no_throw_allocatorINSC_19temporary_allocatorIS8_S9_EEEEEEvEEEEmLj1EEEvT0_T1_SO_.num_agpr, 0
	.set _ZN6thrust23THRUST_200600_302600_NS11hip_rocprim14__parallel_for6kernelILj256ENS1_10for_each_fINS0_7pointerINS0_5tupleIbffNS0_9null_typeES7_S7_S7_S7_S7_S7_EENS1_3tagENS0_11use_defaultESA_EENS0_6detail16wrapped_functionINSC_23allocator_traits_detail24construct1_via_allocatorINSC_18no_throw_allocatorINSC_19temporary_allocatorIS8_S9_EEEEEEvEEEEmLj1EEEvT0_T1_SO_.numbered_sgpr, 12
	.set _ZN6thrust23THRUST_200600_302600_NS11hip_rocprim14__parallel_for6kernelILj256ENS1_10for_each_fINS0_7pointerINS0_5tupleIbffNS0_9null_typeES7_S7_S7_S7_S7_S7_EENS1_3tagENS0_11use_defaultESA_EENS0_6detail16wrapped_functionINSC_23allocator_traits_detail24construct1_via_allocatorINSC_18no_throw_allocatorINSC_19temporary_allocatorIS8_S9_EEEEEEvEEEEmLj1EEEvT0_T1_SO_.num_named_barrier, 0
	.set _ZN6thrust23THRUST_200600_302600_NS11hip_rocprim14__parallel_for6kernelILj256ENS1_10for_each_fINS0_7pointerINS0_5tupleIbffNS0_9null_typeES7_S7_S7_S7_S7_S7_EENS1_3tagENS0_11use_defaultESA_EENS0_6detail16wrapped_functionINSC_23allocator_traits_detail24construct1_via_allocatorINSC_18no_throw_allocatorINSC_19temporary_allocatorIS8_S9_EEEEEEvEEEEmLj1EEEvT0_T1_SO_.private_seg_size, 0
	.set _ZN6thrust23THRUST_200600_302600_NS11hip_rocprim14__parallel_for6kernelILj256ENS1_10for_each_fINS0_7pointerINS0_5tupleIbffNS0_9null_typeES7_S7_S7_S7_S7_S7_EENS1_3tagENS0_11use_defaultESA_EENS0_6detail16wrapped_functionINSC_23allocator_traits_detail24construct1_via_allocatorINSC_18no_throw_allocatorINSC_19temporary_allocatorIS8_S9_EEEEEEvEEEEmLj1EEEvT0_T1_SO_.uses_vcc, 1
	.set _ZN6thrust23THRUST_200600_302600_NS11hip_rocprim14__parallel_for6kernelILj256ENS1_10for_each_fINS0_7pointerINS0_5tupleIbffNS0_9null_typeES7_S7_S7_S7_S7_S7_EENS1_3tagENS0_11use_defaultESA_EENS0_6detail16wrapped_functionINSC_23allocator_traits_detail24construct1_via_allocatorINSC_18no_throw_allocatorINSC_19temporary_allocatorIS8_S9_EEEEEEvEEEEmLj1EEEvT0_T1_SO_.uses_flat_scratch, 0
	.set _ZN6thrust23THRUST_200600_302600_NS11hip_rocprim14__parallel_for6kernelILj256ENS1_10for_each_fINS0_7pointerINS0_5tupleIbffNS0_9null_typeES7_S7_S7_S7_S7_S7_EENS1_3tagENS0_11use_defaultESA_EENS0_6detail16wrapped_functionINSC_23allocator_traits_detail24construct1_via_allocatorINSC_18no_throw_allocatorINSC_19temporary_allocatorIS8_S9_EEEEEEvEEEEmLj1EEEvT0_T1_SO_.has_dyn_sized_stack, 0
	.set _ZN6thrust23THRUST_200600_302600_NS11hip_rocprim14__parallel_for6kernelILj256ENS1_10for_each_fINS0_7pointerINS0_5tupleIbffNS0_9null_typeES7_S7_S7_S7_S7_S7_EENS1_3tagENS0_11use_defaultESA_EENS0_6detail16wrapped_functionINSC_23allocator_traits_detail24construct1_via_allocatorINSC_18no_throw_allocatorINSC_19temporary_allocatorIS8_S9_EEEEEEvEEEEmLj1EEEvT0_T1_SO_.has_recursion, 0
	.set _ZN6thrust23THRUST_200600_302600_NS11hip_rocprim14__parallel_for6kernelILj256ENS1_10for_each_fINS0_7pointerINS0_5tupleIbffNS0_9null_typeES7_S7_S7_S7_S7_S7_EENS1_3tagENS0_11use_defaultESA_EENS0_6detail16wrapped_functionINSC_23allocator_traits_detail24construct1_via_allocatorINSC_18no_throw_allocatorINSC_19temporary_allocatorIS8_S9_EEEEEEvEEEEmLj1EEEvT0_T1_SO_.has_indirect_call, 0
	.section	.AMDGPU.csdata,"",@progbits
; Kernel info:
; codeLenInByte = 216
; TotalNumSgprs: 14
; NumVgprs: 5
; ScratchSize: 0
; MemoryBound: 0
; FloatMode: 240
; IeeeMode: 1
; LDSByteSize: 0 bytes/workgroup (compile time only)
; SGPRBlocks: 0
; VGPRBlocks: 0
; NumSGPRsForWavesPerEU: 14
; NumVGPRsForWavesPerEU: 5
; Occupancy: 16
; WaveLimiterHint : 0
; COMPUTE_PGM_RSRC2:SCRATCH_EN: 0
; COMPUTE_PGM_RSRC2:USER_SGPR: 6
; COMPUTE_PGM_RSRC2:TRAP_HANDLER: 0
; COMPUTE_PGM_RSRC2:TGID_X_EN: 1
; COMPUTE_PGM_RSRC2:TGID_Y_EN: 0
; COMPUTE_PGM_RSRC2:TGID_Z_EN: 0
; COMPUTE_PGM_RSRC2:TIDIG_COMP_CNT: 0
	.section	.text._ZN6thrust23THRUST_200600_302600_NS11hip_rocprim14__parallel_for6kernelILj256ENS1_10for_each_fINS0_7pointerINS0_5tupleIbffNS0_9null_typeES7_S7_S7_S7_S7_S7_EENS1_3tagENS0_11use_defaultESA_EENS0_6detail16wrapped_functionINSC_23allocator_traits_detail5gozerEvEEEElLj1EEEvT0_T1_SJ_,"axG",@progbits,_ZN6thrust23THRUST_200600_302600_NS11hip_rocprim14__parallel_for6kernelILj256ENS1_10for_each_fINS0_7pointerINS0_5tupleIbffNS0_9null_typeES7_S7_S7_S7_S7_S7_EENS1_3tagENS0_11use_defaultESA_EENS0_6detail16wrapped_functionINSC_23allocator_traits_detail5gozerEvEEEElLj1EEEvT0_T1_SJ_,comdat
	.protected	_ZN6thrust23THRUST_200600_302600_NS11hip_rocprim14__parallel_for6kernelILj256ENS1_10for_each_fINS0_7pointerINS0_5tupleIbffNS0_9null_typeES7_S7_S7_S7_S7_S7_EENS1_3tagENS0_11use_defaultESA_EENS0_6detail16wrapped_functionINSC_23allocator_traits_detail5gozerEvEEEElLj1EEEvT0_T1_SJ_ ; -- Begin function _ZN6thrust23THRUST_200600_302600_NS11hip_rocprim14__parallel_for6kernelILj256ENS1_10for_each_fINS0_7pointerINS0_5tupleIbffNS0_9null_typeES7_S7_S7_S7_S7_S7_EENS1_3tagENS0_11use_defaultESA_EENS0_6detail16wrapped_functionINSC_23allocator_traits_detail5gozerEvEEEElLj1EEEvT0_T1_SJ_
	.globl	_ZN6thrust23THRUST_200600_302600_NS11hip_rocprim14__parallel_for6kernelILj256ENS1_10for_each_fINS0_7pointerINS0_5tupleIbffNS0_9null_typeES7_S7_S7_S7_S7_S7_EENS1_3tagENS0_11use_defaultESA_EENS0_6detail16wrapped_functionINSC_23allocator_traits_detail5gozerEvEEEElLj1EEEvT0_T1_SJ_
	.p2align	8
	.type	_ZN6thrust23THRUST_200600_302600_NS11hip_rocprim14__parallel_for6kernelILj256ENS1_10for_each_fINS0_7pointerINS0_5tupleIbffNS0_9null_typeES7_S7_S7_S7_S7_S7_EENS1_3tagENS0_11use_defaultESA_EENS0_6detail16wrapped_functionINSC_23allocator_traits_detail5gozerEvEEEElLj1EEEvT0_T1_SJ_,@function
_ZN6thrust23THRUST_200600_302600_NS11hip_rocprim14__parallel_for6kernelILj256ENS1_10for_each_fINS0_7pointerINS0_5tupleIbffNS0_9null_typeES7_S7_S7_S7_S7_S7_EENS1_3tagENS0_11use_defaultESA_EENS0_6detail16wrapped_functionINSC_23allocator_traits_detail5gozerEvEEEElLj1EEEvT0_T1_SJ_: ; @_ZN6thrust23THRUST_200600_302600_NS11hip_rocprim14__parallel_for6kernelILj256ENS1_10for_each_fINS0_7pointerINS0_5tupleIbffNS0_9null_typeES7_S7_S7_S7_S7_S7_EENS1_3tagENS0_11use_defaultESA_EENS0_6detail16wrapped_functionINSC_23allocator_traits_detail5gozerEvEEEElLj1EEEvT0_T1_SJ_
; %bb.0:
	s_endpgm
	.section	.rodata,"a",@progbits
	.p2align	6, 0x0
	.amdhsa_kernel _ZN6thrust23THRUST_200600_302600_NS11hip_rocprim14__parallel_for6kernelILj256ENS1_10for_each_fINS0_7pointerINS0_5tupleIbffNS0_9null_typeES7_S7_S7_S7_S7_S7_EENS1_3tagENS0_11use_defaultESA_EENS0_6detail16wrapped_functionINSC_23allocator_traits_detail5gozerEvEEEElLj1EEEvT0_T1_SJ_
		.amdhsa_group_segment_fixed_size 0
		.amdhsa_private_segment_fixed_size 0
		.amdhsa_kernarg_size 32
		.amdhsa_user_sgpr_count 6
		.amdhsa_user_sgpr_private_segment_buffer 1
		.amdhsa_user_sgpr_dispatch_ptr 0
		.amdhsa_user_sgpr_queue_ptr 0
		.amdhsa_user_sgpr_kernarg_segment_ptr 1
		.amdhsa_user_sgpr_dispatch_id 0
		.amdhsa_user_sgpr_flat_scratch_init 0
		.amdhsa_user_sgpr_private_segment_size 0
		.amdhsa_wavefront_size32 1
		.amdhsa_uses_dynamic_stack 0
		.amdhsa_system_sgpr_private_segment_wavefront_offset 0
		.amdhsa_system_sgpr_workgroup_id_x 1
		.amdhsa_system_sgpr_workgroup_id_y 0
		.amdhsa_system_sgpr_workgroup_id_z 0
		.amdhsa_system_sgpr_workgroup_info 0
		.amdhsa_system_vgpr_workitem_id 0
		.amdhsa_next_free_vgpr 1
		.amdhsa_next_free_sgpr 1
		.amdhsa_reserve_vcc 0
		.amdhsa_reserve_flat_scratch 0
		.amdhsa_float_round_mode_32 0
		.amdhsa_float_round_mode_16_64 0
		.amdhsa_float_denorm_mode_32 3
		.amdhsa_float_denorm_mode_16_64 3
		.amdhsa_dx10_clamp 1
		.amdhsa_ieee_mode 1
		.amdhsa_fp16_overflow 0
		.amdhsa_workgroup_processor_mode 1
		.amdhsa_memory_ordered 1
		.amdhsa_forward_progress 1
		.amdhsa_shared_vgpr_count 0
		.amdhsa_exception_fp_ieee_invalid_op 0
		.amdhsa_exception_fp_denorm_src 0
		.amdhsa_exception_fp_ieee_div_zero 0
		.amdhsa_exception_fp_ieee_overflow 0
		.amdhsa_exception_fp_ieee_underflow 0
		.amdhsa_exception_fp_ieee_inexact 0
		.amdhsa_exception_int_div_zero 0
	.end_amdhsa_kernel
	.section	.text._ZN6thrust23THRUST_200600_302600_NS11hip_rocprim14__parallel_for6kernelILj256ENS1_10for_each_fINS0_7pointerINS0_5tupleIbffNS0_9null_typeES7_S7_S7_S7_S7_S7_EENS1_3tagENS0_11use_defaultESA_EENS0_6detail16wrapped_functionINSC_23allocator_traits_detail5gozerEvEEEElLj1EEEvT0_T1_SJ_,"axG",@progbits,_ZN6thrust23THRUST_200600_302600_NS11hip_rocprim14__parallel_for6kernelILj256ENS1_10for_each_fINS0_7pointerINS0_5tupleIbffNS0_9null_typeES7_S7_S7_S7_S7_S7_EENS1_3tagENS0_11use_defaultESA_EENS0_6detail16wrapped_functionINSC_23allocator_traits_detail5gozerEvEEEElLj1EEEvT0_T1_SJ_,comdat
.Lfunc_end38:
	.size	_ZN6thrust23THRUST_200600_302600_NS11hip_rocprim14__parallel_for6kernelILj256ENS1_10for_each_fINS0_7pointerINS0_5tupleIbffNS0_9null_typeES7_S7_S7_S7_S7_S7_EENS1_3tagENS0_11use_defaultESA_EENS0_6detail16wrapped_functionINSC_23allocator_traits_detail5gozerEvEEEElLj1EEEvT0_T1_SJ_, .Lfunc_end38-_ZN6thrust23THRUST_200600_302600_NS11hip_rocprim14__parallel_for6kernelILj256ENS1_10for_each_fINS0_7pointerINS0_5tupleIbffNS0_9null_typeES7_S7_S7_S7_S7_S7_EENS1_3tagENS0_11use_defaultESA_EENS0_6detail16wrapped_functionINSC_23allocator_traits_detail5gozerEvEEEElLj1EEEvT0_T1_SJ_
                                        ; -- End function
	.set _ZN6thrust23THRUST_200600_302600_NS11hip_rocprim14__parallel_for6kernelILj256ENS1_10for_each_fINS0_7pointerINS0_5tupleIbffNS0_9null_typeES7_S7_S7_S7_S7_S7_EENS1_3tagENS0_11use_defaultESA_EENS0_6detail16wrapped_functionINSC_23allocator_traits_detail5gozerEvEEEElLj1EEEvT0_T1_SJ_.num_vgpr, 0
	.set _ZN6thrust23THRUST_200600_302600_NS11hip_rocprim14__parallel_for6kernelILj256ENS1_10for_each_fINS0_7pointerINS0_5tupleIbffNS0_9null_typeES7_S7_S7_S7_S7_S7_EENS1_3tagENS0_11use_defaultESA_EENS0_6detail16wrapped_functionINSC_23allocator_traits_detail5gozerEvEEEElLj1EEEvT0_T1_SJ_.num_agpr, 0
	.set _ZN6thrust23THRUST_200600_302600_NS11hip_rocprim14__parallel_for6kernelILj256ENS1_10for_each_fINS0_7pointerINS0_5tupleIbffNS0_9null_typeES7_S7_S7_S7_S7_S7_EENS1_3tagENS0_11use_defaultESA_EENS0_6detail16wrapped_functionINSC_23allocator_traits_detail5gozerEvEEEElLj1EEEvT0_T1_SJ_.numbered_sgpr, 0
	.set _ZN6thrust23THRUST_200600_302600_NS11hip_rocprim14__parallel_for6kernelILj256ENS1_10for_each_fINS0_7pointerINS0_5tupleIbffNS0_9null_typeES7_S7_S7_S7_S7_S7_EENS1_3tagENS0_11use_defaultESA_EENS0_6detail16wrapped_functionINSC_23allocator_traits_detail5gozerEvEEEElLj1EEEvT0_T1_SJ_.num_named_barrier, 0
	.set _ZN6thrust23THRUST_200600_302600_NS11hip_rocprim14__parallel_for6kernelILj256ENS1_10for_each_fINS0_7pointerINS0_5tupleIbffNS0_9null_typeES7_S7_S7_S7_S7_S7_EENS1_3tagENS0_11use_defaultESA_EENS0_6detail16wrapped_functionINSC_23allocator_traits_detail5gozerEvEEEElLj1EEEvT0_T1_SJ_.private_seg_size, 0
	.set _ZN6thrust23THRUST_200600_302600_NS11hip_rocprim14__parallel_for6kernelILj256ENS1_10for_each_fINS0_7pointerINS0_5tupleIbffNS0_9null_typeES7_S7_S7_S7_S7_S7_EENS1_3tagENS0_11use_defaultESA_EENS0_6detail16wrapped_functionINSC_23allocator_traits_detail5gozerEvEEEElLj1EEEvT0_T1_SJ_.uses_vcc, 0
	.set _ZN6thrust23THRUST_200600_302600_NS11hip_rocprim14__parallel_for6kernelILj256ENS1_10for_each_fINS0_7pointerINS0_5tupleIbffNS0_9null_typeES7_S7_S7_S7_S7_S7_EENS1_3tagENS0_11use_defaultESA_EENS0_6detail16wrapped_functionINSC_23allocator_traits_detail5gozerEvEEEElLj1EEEvT0_T1_SJ_.uses_flat_scratch, 0
	.set _ZN6thrust23THRUST_200600_302600_NS11hip_rocprim14__parallel_for6kernelILj256ENS1_10for_each_fINS0_7pointerINS0_5tupleIbffNS0_9null_typeES7_S7_S7_S7_S7_S7_EENS1_3tagENS0_11use_defaultESA_EENS0_6detail16wrapped_functionINSC_23allocator_traits_detail5gozerEvEEEElLj1EEEvT0_T1_SJ_.has_dyn_sized_stack, 0
	.set _ZN6thrust23THRUST_200600_302600_NS11hip_rocprim14__parallel_for6kernelILj256ENS1_10for_each_fINS0_7pointerINS0_5tupleIbffNS0_9null_typeES7_S7_S7_S7_S7_S7_EENS1_3tagENS0_11use_defaultESA_EENS0_6detail16wrapped_functionINSC_23allocator_traits_detail5gozerEvEEEElLj1EEEvT0_T1_SJ_.has_recursion, 0
	.set _ZN6thrust23THRUST_200600_302600_NS11hip_rocprim14__parallel_for6kernelILj256ENS1_10for_each_fINS0_7pointerINS0_5tupleIbffNS0_9null_typeES7_S7_S7_S7_S7_S7_EENS1_3tagENS0_11use_defaultESA_EENS0_6detail16wrapped_functionINSC_23allocator_traits_detail5gozerEvEEEElLj1EEEvT0_T1_SJ_.has_indirect_call, 0
	.section	.AMDGPU.csdata,"",@progbits
; Kernel info:
; codeLenInByte = 4
; TotalNumSgprs: 0
; NumVgprs: 0
; ScratchSize: 0
; MemoryBound: 0
; FloatMode: 240
; IeeeMode: 1
; LDSByteSize: 0 bytes/workgroup (compile time only)
; SGPRBlocks: 0
; VGPRBlocks: 0
; NumSGPRsForWavesPerEU: 1
; NumVGPRsForWavesPerEU: 1
; Occupancy: 16
; WaveLimiterHint : 0
; COMPUTE_PGM_RSRC2:SCRATCH_EN: 0
; COMPUTE_PGM_RSRC2:USER_SGPR: 6
; COMPUTE_PGM_RSRC2:TRAP_HANDLER: 0
; COMPUTE_PGM_RSRC2:TGID_X_EN: 1
; COMPUTE_PGM_RSRC2:TGID_Y_EN: 0
; COMPUTE_PGM_RSRC2:TGID_Z_EN: 0
; COMPUTE_PGM_RSRC2:TIDIG_COMP_CNT: 0
	.section	.text._ZN6thrust23THRUST_200600_302600_NS11hip_rocprim14__parallel_for6kernelILj256ENS1_20__uninitialized_copy7functorIPNS0_5tupleIbffNS0_9null_typeES7_S7_S7_S7_S7_S7_EENS0_7pointerIS8_NS1_3tagENS0_11use_defaultESC_EEEEmLj1EEEvT0_T1_SG_,"axG",@progbits,_ZN6thrust23THRUST_200600_302600_NS11hip_rocprim14__parallel_for6kernelILj256ENS1_20__uninitialized_copy7functorIPNS0_5tupleIbffNS0_9null_typeES7_S7_S7_S7_S7_S7_EENS0_7pointerIS8_NS1_3tagENS0_11use_defaultESC_EEEEmLj1EEEvT0_T1_SG_,comdat
	.protected	_ZN6thrust23THRUST_200600_302600_NS11hip_rocprim14__parallel_for6kernelILj256ENS1_20__uninitialized_copy7functorIPNS0_5tupleIbffNS0_9null_typeES7_S7_S7_S7_S7_S7_EENS0_7pointerIS8_NS1_3tagENS0_11use_defaultESC_EEEEmLj1EEEvT0_T1_SG_ ; -- Begin function _ZN6thrust23THRUST_200600_302600_NS11hip_rocprim14__parallel_for6kernelILj256ENS1_20__uninitialized_copy7functorIPNS0_5tupleIbffNS0_9null_typeES7_S7_S7_S7_S7_S7_EENS0_7pointerIS8_NS1_3tagENS0_11use_defaultESC_EEEEmLj1EEEvT0_T1_SG_
	.globl	_ZN6thrust23THRUST_200600_302600_NS11hip_rocprim14__parallel_for6kernelILj256ENS1_20__uninitialized_copy7functorIPNS0_5tupleIbffNS0_9null_typeES7_S7_S7_S7_S7_S7_EENS0_7pointerIS8_NS1_3tagENS0_11use_defaultESC_EEEEmLj1EEEvT0_T1_SG_
	.p2align	8
	.type	_ZN6thrust23THRUST_200600_302600_NS11hip_rocprim14__parallel_for6kernelILj256ENS1_20__uninitialized_copy7functorIPNS0_5tupleIbffNS0_9null_typeES7_S7_S7_S7_S7_S7_EENS0_7pointerIS8_NS1_3tagENS0_11use_defaultESC_EEEEmLj1EEEvT0_T1_SG_,@function
_ZN6thrust23THRUST_200600_302600_NS11hip_rocprim14__parallel_for6kernelILj256ENS1_20__uninitialized_copy7functorIPNS0_5tupleIbffNS0_9null_typeES7_S7_S7_S7_S7_S7_EENS0_7pointerIS8_NS1_3tagENS0_11use_defaultESC_EEEEmLj1EEEvT0_T1_SG_: ; @_ZN6thrust23THRUST_200600_302600_NS11hip_rocprim14__parallel_for6kernelILj256ENS1_20__uninitialized_copy7functorIPNS0_5tupleIbffNS0_9null_typeES7_S7_S7_S7_S7_S7_EENS0_7pointerIS8_NS1_3tagENS0_11use_defaultESC_EEEEmLj1EEEvT0_T1_SG_
; %bb.0:
	s_load_dwordx8 s[8:15], s[4:5], 0x0
	s_lshl_b32 s0, s6, 8
	s_waitcnt lgkmcnt(0)
	s_add_u32 s2, s14, s0
	s_addc_u32 s3, s15, 0
	s_sub_u32 s0, s12, s2
	s_subb_u32 s1, s13, s3
	v_cmp_lt_u64_e64 s4, 0xff, s[0:1]
	s_mov_b32 s1, 0
	s_and_b32 vcc_lo, exec_lo, s4
	s_mov_b32 s4, -1
	s_cbranch_vccz .LBB39_4
; %bb.1:
	s_andn2_b32 vcc_lo, exec_lo, s4
	s_cbranch_vccz .LBB39_5
.LBB39_2:
	s_and_saveexec_b32 s0, s1
	s_cbranch_execnz .LBB39_6
.LBB39_3:
	s_endpgm
.LBB39_4:
	v_cmp_gt_u32_e32 vcc_lo, s0, v0
	s_and_b32 s1, vcc_lo, exec_lo
	s_cbranch_execnz .LBB39_2
.LBB39_5:
	s_or_b32 s1, s1, exec_lo
	s_and_saveexec_b32 s0, s1
	s_cbranch_execz .LBB39_3
.LBB39_6:
	v_add_co_u32 v3, s0, s2, v0
	v_add_co_ci_u32_e64 v2, null, s3, 0, s0
	v_mad_u64_u32 v[0:1], null, v3, 12, s[8:9]
	v_mul_lo_u32 v5, v2, 12
	v_mad_u64_u32 v[3:4], null, v3, 12, s[10:11]
	v_add_nc_u32_e32 v1, v5, v1
	v_add_nc_u32_e32 v4, v5, v4
	global_load_dwordx3 v[0:2], v[0:1], off
	s_waitcnt vmcnt(0)
	flat_store_dwordx3 v[3:4], v[0:2]
	s_endpgm
	.section	.rodata,"a",@progbits
	.p2align	6, 0x0
	.amdhsa_kernel _ZN6thrust23THRUST_200600_302600_NS11hip_rocprim14__parallel_for6kernelILj256ENS1_20__uninitialized_copy7functorIPNS0_5tupleIbffNS0_9null_typeES7_S7_S7_S7_S7_S7_EENS0_7pointerIS8_NS1_3tagENS0_11use_defaultESC_EEEEmLj1EEEvT0_T1_SG_
		.amdhsa_group_segment_fixed_size 0
		.amdhsa_private_segment_fixed_size 0
		.amdhsa_kernarg_size 32
		.amdhsa_user_sgpr_count 6
		.amdhsa_user_sgpr_private_segment_buffer 1
		.amdhsa_user_sgpr_dispatch_ptr 0
		.amdhsa_user_sgpr_queue_ptr 0
		.amdhsa_user_sgpr_kernarg_segment_ptr 1
		.amdhsa_user_sgpr_dispatch_id 0
		.amdhsa_user_sgpr_flat_scratch_init 0
		.amdhsa_user_sgpr_private_segment_size 0
		.amdhsa_wavefront_size32 1
		.amdhsa_uses_dynamic_stack 0
		.amdhsa_system_sgpr_private_segment_wavefront_offset 0
		.amdhsa_system_sgpr_workgroup_id_x 1
		.amdhsa_system_sgpr_workgroup_id_y 0
		.amdhsa_system_sgpr_workgroup_id_z 0
		.amdhsa_system_sgpr_workgroup_info 0
		.amdhsa_system_vgpr_workitem_id 0
		.amdhsa_next_free_vgpr 6
		.amdhsa_next_free_sgpr 16
		.amdhsa_reserve_vcc 1
		.amdhsa_reserve_flat_scratch 0
		.amdhsa_float_round_mode_32 0
		.amdhsa_float_round_mode_16_64 0
		.amdhsa_float_denorm_mode_32 3
		.amdhsa_float_denorm_mode_16_64 3
		.amdhsa_dx10_clamp 1
		.amdhsa_ieee_mode 1
		.amdhsa_fp16_overflow 0
		.amdhsa_workgroup_processor_mode 1
		.amdhsa_memory_ordered 1
		.amdhsa_forward_progress 1
		.amdhsa_shared_vgpr_count 0
		.amdhsa_exception_fp_ieee_invalid_op 0
		.amdhsa_exception_fp_denorm_src 0
		.amdhsa_exception_fp_ieee_div_zero 0
		.amdhsa_exception_fp_ieee_overflow 0
		.amdhsa_exception_fp_ieee_underflow 0
		.amdhsa_exception_fp_ieee_inexact 0
		.amdhsa_exception_int_div_zero 0
	.end_amdhsa_kernel
	.section	.text._ZN6thrust23THRUST_200600_302600_NS11hip_rocprim14__parallel_for6kernelILj256ENS1_20__uninitialized_copy7functorIPNS0_5tupleIbffNS0_9null_typeES7_S7_S7_S7_S7_S7_EENS0_7pointerIS8_NS1_3tagENS0_11use_defaultESC_EEEEmLj1EEEvT0_T1_SG_,"axG",@progbits,_ZN6thrust23THRUST_200600_302600_NS11hip_rocprim14__parallel_for6kernelILj256ENS1_20__uninitialized_copy7functorIPNS0_5tupleIbffNS0_9null_typeES7_S7_S7_S7_S7_S7_EENS0_7pointerIS8_NS1_3tagENS0_11use_defaultESC_EEEEmLj1EEEvT0_T1_SG_,comdat
.Lfunc_end39:
	.size	_ZN6thrust23THRUST_200600_302600_NS11hip_rocprim14__parallel_for6kernelILj256ENS1_20__uninitialized_copy7functorIPNS0_5tupleIbffNS0_9null_typeES7_S7_S7_S7_S7_S7_EENS0_7pointerIS8_NS1_3tagENS0_11use_defaultESC_EEEEmLj1EEEvT0_T1_SG_, .Lfunc_end39-_ZN6thrust23THRUST_200600_302600_NS11hip_rocprim14__parallel_for6kernelILj256ENS1_20__uninitialized_copy7functorIPNS0_5tupleIbffNS0_9null_typeES7_S7_S7_S7_S7_S7_EENS0_7pointerIS8_NS1_3tagENS0_11use_defaultESC_EEEEmLj1EEEvT0_T1_SG_
                                        ; -- End function
	.set _ZN6thrust23THRUST_200600_302600_NS11hip_rocprim14__parallel_for6kernelILj256ENS1_20__uninitialized_copy7functorIPNS0_5tupleIbffNS0_9null_typeES7_S7_S7_S7_S7_S7_EENS0_7pointerIS8_NS1_3tagENS0_11use_defaultESC_EEEEmLj1EEEvT0_T1_SG_.num_vgpr, 6
	.set _ZN6thrust23THRUST_200600_302600_NS11hip_rocprim14__parallel_for6kernelILj256ENS1_20__uninitialized_copy7functorIPNS0_5tupleIbffNS0_9null_typeES7_S7_S7_S7_S7_S7_EENS0_7pointerIS8_NS1_3tagENS0_11use_defaultESC_EEEEmLj1EEEvT0_T1_SG_.num_agpr, 0
	.set _ZN6thrust23THRUST_200600_302600_NS11hip_rocprim14__parallel_for6kernelILj256ENS1_20__uninitialized_copy7functorIPNS0_5tupleIbffNS0_9null_typeES7_S7_S7_S7_S7_S7_EENS0_7pointerIS8_NS1_3tagENS0_11use_defaultESC_EEEEmLj1EEEvT0_T1_SG_.numbered_sgpr, 16
	.set _ZN6thrust23THRUST_200600_302600_NS11hip_rocprim14__parallel_for6kernelILj256ENS1_20__uninitialized_copy7functorIPNS0_5tupleIbffNS0_9null_typeES7_S7_S7_S7_S7_S7_EENS0_7pointerIS8_NS1_3tagENS0_11use_defaultESC_EEEEmLj1EEEvT0_T1_SG_.num_named_barrier, 0
	.set _ZN6thrust23THRUST_200600_302600_NS11hip_rocprim14__parallel_for6kernelILj256ENS1_20__uninitialized_copy7functorIPNS0_5tupleIbffNS0_9null_typeES7_S7_S7_S7_S7_S7_EENS0_7pointerIS8_NS1_3tagENS0_11use_defaultESC_EEEEmLj1EEEvT0_T1_SG_.private_seg_size, 0
	.set _ZN6thrust23THRUST_200600_302600_NS11hip_rocprim14__parallel_for6kernelILj256ENS1_20__uninitialized_copy7functorIPNS0_5tupleIbffNS0_9null_typeES7_S7_S7_S7_S7_S7_EENS0_7pointerIS8_NS1_3tagENS0_11use_defaultESC_EEEEmLj1EEEvT0_T1_SG_.uses_vcc, 1
	.set _ZN6thrust23THRUST_200600_302600_NS11hip_rocprim14__parallel_for6kernelILj256ENS1_20__uninitialized_copy7functorIPNS0_5tupleIbffNS0_9null_typeES7_S7_S7_S7_S7_S7_EENS0_7pointerIS8_NS1_3tagENS0_11use_defaultESC_EEEEmLj1EEEvT0_T1_SG_.uses_flat_scratch, 0
	.set _ZN6thrust23THRUST_200600_302600_NS11hip_rocprim14__parallel_for6kernelILj256ENS1_20__uninitialized_copy7functorIPNS0_5tupleIbffNS0_9null_typeES7_S7_S7_S7_S7_S7_EENS0_7pointerIS8_NS1_3tagENS0_11use_defaultESC_EEEEmLj1EEEvT0_T1_SG_.has_dyn_sized_stack, 0
	.set _ZN6thrust23THRUST_200600_302600_NS11hip_rocprim14__parallel_for6kernelILj256ENS1_20__uninitialized_copy7functorIPNS0_5tupleIbffNS0_9null_typeES7_S7_S7_S7_S7_S7_EENS0_7pointerIS8_NS1_3tagENS0_11use_defaultESC_EEEEmLj1EEEvT0_T1_SG_.has_recursion, 0
	.set _ZN6thrust23THRUST_200600_302600_NS11hip_rocprim14__parallel_for6kernelILj256ENS1_20__uninitialized_copy7functorIPNS0_5tupleIbffNS0_9null_typeES7_S7_S7_S7_S7_S7_EENS0_7pointerIS8_NS1_3tagENS0_11use_defaultESC_EEEEmLj1EEEvT0_T1_SG_.has_indirect_call, 0
	.section	.AMDGPU.csdata,"",@progbits
; Kernel info:
; codeLenInByte = 176
; TotalNumSgprs: 18
; NumVgprs: 6
; ScratchSize: 0
; MemoryBound: 0
; FloatMode: 240
; IeeeMode: 1
; LDSByteSize: 0 bytes/workgroup (compile time only)
; SGPRBlocks: 0
; VGPRBlocks: 0
; NumSGPRsForWavesPerEU: 18
; NumVGPRsForWavesPerEU: 6
; Occupancy: 16
; WaveLimiterHint : 0
; COMPUTE_PGM_RSRC2:SCRATCH_EN: 0
; COMPUTE_PGM_RSRC2:USER_SGPR: 6
; COMPUTE_PGM_RSRC2:TRAP_HANDLER: 0
; COMPUTE_PGM_RSRC2:TGID_X_EN: 1
; COMPUTE_PGM_RSRC2:TGID_Y_EN: 0
; COMPUTE_PGM_RSRC2:TGID_Z_EN: 0
; COMPUTE_PGM_RSRC2:TIDIG_COMP_CNT: 0
	.section	.AMDGPU.gpr_maximums,"",@progbits
	.set amdgpu.max_num_vgpr, 0
	.set amdgpu.max_num_agpr, 0
	.set amdgpu.max_num_sgpr, 0
	.section	.AMDGPU.csdata,"",@progbits
	.type	__hip_cuid_dec04601b2e6f113,@object ; @__hip_cuid_dec04601b2e6f113
	.section	.bss,"aw",@nobits
	.globl	__hip_cuid_dec04601b2e6f113
__hip_cuid_dec04601b2e6f113:
	.byte	0                               ; 0x0
	.size	__hip_cuid_dec04601b2e6f113, 1

	.ident	"AMD clang version 22.0.0git (https://github.com/RadeonOpenCompute/llvm-project roc-7.2.4 26084 f58b06dce1f9c15707c5f808fd002e18c2accf7e)"
	.section	".note.GNU-stack","",@progbits
	.addrsig
	.addrsig_sym __hip_cuid_dec04601b2e6f113
	.amdgpu_metadata
---
amdhsa.kernels:
  - .args:
      - .offset:         0
        .size:           16
        .value_kind:     by_value
      - .offset:         16
        .size:           8
        .value_kind:     by_value
      - .offset:         24
        .size:           8
        .value_kind:     by_value
    .group_segment_fixed_size: 0
    .kernarg_segment_align: 8
    .kernarg_segment_size: 32
    .language:       OpenCL C
    .language_version:
      - 2
      - 0
    .max_flat_workgroup_size: 256
    .name:           _ZN6thrust23THRUST_200600_302600_NS11hip_rocprim14__parallel_for6kernelILj256ENS1_20__uninitialized_fill7functorINS0_10device_ptrIfEEfEEmLj1EEEvT0_T1_SA_
    .private_segment_fixed_size: 0
    .sgpr_count:     14
    .sgpr_spill_count: 0
    .symbol:         _ZN6thrust23THRUST_200600_302600_NS11hip_rocprim14__parallel_for6kernelILj256ENS1_20__uninitialized_fill7functorINS0_10device_ptrIfEEfEEmLj1EEEvT0_T1_SA_.kd
    .uniform_work_group_size: 1
    .uses_dynamic_stack: false
    .vgpr_count:     4
    .vgpr_spill_count: 0
    .wavefront_size: 32
    .workgroup_processor_mode: 1
  - .args:
      - .offset:         0
        .size:           64
        .value_kind:     by_value
    .group_segment_fixed_size: 0
    .kernarg_segment_align: 8
    .kernarg_segment_size: 64
    .language:       OpenCL C
    .language_version:
      - 2
      - 0
    .max_flat_workgroup_size: 128
    .name:           _ZN7rocprim17ROCPRIM_400000_NS6detail17trampoline_kernelINS0_14default_configENS1_22reduce_config_selectorIN6thrust23THRUST_200600_302600_NS5tupleIbffNS6_9null_typeES8_S8_S8_S8_S8_S8_EEEEZNS1_11reduce_implILb1ES3_PS9_SC_S9_12reduce_tupleIifEEE10hipError_tPvRmT1_T2_T3_mT4_P12ihipStream_tbEUlT_E0_NS1_11comp_targetILNS1_3genE0ELNS1_11target_archE4294967295ELNS1_3gpuE0ELNS1_3repE0EEENS1_30default_config_static_selectorELNS0_4arch9wavefront6targetE0EEEvSI_
    .private_segment_fixed_size: 0
    .sgpr_count:     0
    .sgpr_spill_count: 0
    .symbol:         _ZN7rocprim17ROCPRIM_400000_NS6detail17trampoline_kernelINS0_14default_configENS1_22reduce_config_selectorIN6thrust23THRUST_200600_302600_NS5tupleIbffNS6_9null_typeES8_S8_S8_S8_S8_S8_EEEEZNS1_11reduce_implILb1ES3_PS9_SC_S9_12reduce_tupleIifEEE10hipError_tPvRmT1_T2_T3_mT4_P12ihipStream_tbEUlT_E0_NS1_11comp_targetILNS1_3genE0ELNS1_11target_archE4294967295ELNS1_3gpuE0ELNS1_3repE0EEENS1_30default_config_static_selectorELNS0_4arch9wavefront6targetE0EEEvSI_.kd
    .uniform_work_group_size: 1
    .uses_dynamic_stack: false
    .vgpr_count:     0
    .vgpr_spill_count: 0
    .wavefront_size: 32
    .workgroup_processor_mode: 1
  - .args:
      - .offset:         0
        .size:           64
        .value_kind:     by_value
    .group_segment_fixed_size: 0
    .kernarg_segment_align: 8
    .kernarg_segment_size: 64
    .language:       OpenCL C
    .language_version:
      - 2
      - 0
    .max_flat_workgroup_size: 256
    .name:           _ZN7rocprim17ROCPRIM_400000_NS6detail17trampoline_kernelINS0_14default_configENS1_22reduce_config_selectorIN6thrust23THRUST_200600_302600_NS5tupleIbffNS6_9null_typeES8_S8_S8_S8_S8_S8_EEEEZNS1_11reduce_implILb1ES3_PS9_SC_S9_12reduce_tupleIifEEE10hipError_tPvRmT1_T2_T3_mT4_P12ihipStream_tbEUlT_E0_NS1_11comp_targetILNS1_3genE5ELNS1_11target_archE942ELNS1_3gpuE9ELNS1_3repE0EEENS1_30default_config_static_selectorELNS0_4arch9wavefront6targetE0EEEvSI_
    .private_segment_fixed_size: 0
    .sgpr_count:     0
    .sgpr_spill_count: 0
    .symbol:         _ZN7rocprim17ROCPRIM_400000_NS6detail17trampoline_kernelINS0_14default_configENS1_22reduce_config_selectorIN6thrust23THRUST_200600_302600_NS5tupleIbffNS6_9null_typeES8_S8_S8_S8_S8_S8_EEEEZNS1_11reduce_implILb1ES3_PS9_SC_S9_12reduce_tupleIifEEE10hipError_tPvRmT1_T2_T3_mT4_P12ihipStream_tbEUlT_E0_NS1_11comp_targetILNS1_3genE5ELNS1_11target_archE942ELNS1_3gpuE9ELNS1_3repE0EEENS1_30default_config_static_selectorELNS0_4arch9wavefront6targetE0EEEvSI_.kd
    .uniform_work_group_size: 1
    .uses_dynamic_stack: false
    .vgpr_count:     0
    .vgpr_spill_count: 0
    .wavefront_size: 32
    .workgroup_processor_mode: 1
  - .args:
      - .offset:         0
        .size:           64
        .value_kind:     by_value
    .group_segment_fixed_size: 0
    .kernarg_segment_align: 8
    .kernarg_segment_size: 64
    .language:       OpenCL C
    .language_version:
      - 2
      - 0
    .max_flat_workgroup_size: 256
    .name:           _ZN7rocprim17ROCPRIM_400000_NS6detail17trampoline_kernelINS0_14default_configENS1_22reduce_config_selectorIN6thrust23THRUST_200600_302600_NS5tupleIbffNS6_9null_typeES8_S8_S8_S8_S8_S8_EEEEZNS1_11reduce_implILb1ES3_PS9_SC_S9_12reduce_tupleIifEEE10hipError_tPvRmT1_T2_T3_mT4_P12ihipStream_tbEUlT_E0_NS1_11comp_targetILNS1_3genE4ELNS1_11target_archE910ELNS1_3gpuE8ELNS1_3repE0EEENS1_30default_config_static_selectorELNS0_4arch9wavefront6targetE0EEEvSI_
    .private_segment_fixed_size: 0
    .sgpr_count:     0
    .sgpr_spill_count: 0
    .symbol:         _ZN7rocprim17ROCPRIM_400000_NS6detail17trampoline_kernelINS0_14default_configENS1_22reduce_config_selectorIN6thrust23THRUST_200600_302600_NS5tupleIbffNS6_9null_typeES8_S8_S8_S8_S8_S8_EEEEZNS1_11reduce_implILb1ES3_PS9_SC_S9_12reduce_tupleIifEEE10hipError_tPvRmT1_T2_T3_mT4_P12ihipStream_tbEUlT_E0_NS1_11comp_targetILNS1_3genE4ELNS1_11target_archE910ELNS1_3gpuE8ELNS1_3repE0EEENS1_30default_config_static_selectorELNS0_4arch9wavefront6targetE0EEEvSI_.kd
    .uniform_work_group_size: 1
    .uses_dynamic_stack: false
    .vgpr_count:     0
    .vgpr_spill_count: 0
    .wavefront_size: 32
    .workgroup_processor_mode: 1
  - .args:
      - .offset:         0
        .size:           64
        .value_kind:     by_value
    .group_segment_fixed_size: 0
    .kernarg_segment_align: 8
    .kernarg_segment_size: 64
    .language:       OpenCL C
    .language_version:
      - 2
      - 0
    .max_flat_workgroup_size: 128
    .name:           _ZN7rocprim17ROCPRIM_400000_NS6detail17trampoline_kernelINS0_14default_configENS1_22reduce_config_selectorIN6thrust23THRUST_200600_302600_NS5tupleIbffNS6_9null_typeES8_S8_S8_S8_S8_S8_EEEEZNS1_11reduce_implILb1ES3_PS9_SC_S9_12reduce_tupleIifEEE10hipError_tPvRmT1_T2_T3_mT4_P12ihipStream_tbEUlT_E0_NS1_11comp_targetILNS1_3genE3ELNS1_11target_archE908ELNS1_3gpuE7ELNS1_3repE0EEENS1_30default_config_static_selectorELNS0_4arch9wavefront6targetE0EEEvSI_
    .private_segment_fixed_size: 0
    .sgpr_count:     0
    .sgpr_spill_count: 0
    .symbol:         _ZN7rocprim17ROCPRIM_400000_NS6detail17trampoline_kernelINS0_14default_configENS1_22reduce_config_selectorIN6thrust23THRUST_200600_302600_NS5tupleIbffNS6_9null_typeES8_S8_S8_S8_S8_S8_EEEEZNS1_11reduce_implILb1ES3_PS9_SC_S9_12reduce_tupleIifEEE10hipError_tPvRmT1_T2_T3_mT4_P12ihipStream_tbEUlT_E0_NS1_11comp_targetILNS1_3genE3ELNS1_11target_archE908ELNS1_3gpuE7ELNS1_3repE0EEENS1_30default_config_static_selectorELNS0_4arch9wavefront6targetE0EEEvSI_.kd
    .uniform_work_group_size: 1
    .uses_dynamic_stack: false
    .vgpr_count:     0
    .vgpr_spill_count: 0
    .wavefront_size: 32
    .workgroup_processor_mode: 1
  - .args:
      - .offset:         0
        .size:           64
        .value_kind:     by_value
    .group_segment_fixed_size: 0
    .kernarg_segment_align: 8
    .kernarg_segment_size: 64
    .language:       OpenCL C
    .language_version:
      - 2
      - 0
    .max_flat_workgroup_size: 128
    .name:           _ZN7rocprim17ROCPRIM_400000_NS6detail17trampoline_kernelINS0_14default_configENS1_22reduce_config_selectorIN6thrust23THRUST_200600_302600_NS5tupleIbffNS6_9null_typeES8_S8_S8_S8_S8_S8_EEEEZNS1_11reduce_implILb1ES3_PS9_SC_S9_12reduce_tupleIifEEE10hipError_tPvRmT1_T2_T3_mT4_P12ihipStream_tbEUlT_E0_NS1_11comp_targetILNS1_3genE2ELNS1_11target_archE906ELNS1_3gpuE6ELNS1_3repE0EEENS1_30default_config_static_selectorELNS0_4arch9wavefront6targetE0EEEvSI_
    .private_segment_fixed_size: 0
    .sgpr_count:     0
    .sgpr_spill_count: 0
    .symbol:         _ZN7rocprim17ROCPRIM_400000_NS6detail17trampoline_kernelINS0_14default_configENS1_22reduce_config_selectorIN6thrust23THRUST_200600_302600_NS5tupleIbffNS6_9null_typeES8_S8_S8_S8_S8_S8_EEEEZNS1_11reduce_implILb1ES3_PS9_SC_S9_12reduce_tupleIifEEE10hipError_tPvRmT1_T2_T3_mT4_P12ihipStream_tbEUlT_E0_NS1_11comp_targetILNS1_3genE2ELNS1_11target_archE906ELNS1_3gpuE6ELNS1_3repE0EEENS1_30default_config_static_selectorELNS0_4arch9wavefront6targetE0EEEvSI_.kd
    .uniform_work_group_size: 1
    .uses_dynamic_stack: false
    .vgpr_count:     0
    .vgpr_spill_count: 0
    .wavefront_size: 32
    .workgroup_processor_mode: 1
  - .args:
      - .offset:         0
        .size:           64
        .value_kind:     by_value
    .group_segment_fixed_size: 0
    .kernarg_segment_align: 8
    .kernarg_segment_size: 64
    .language:       OpenCL C
    .language_version:
      - 2
      - 0
    .max_flat_workgroup_size: 256
    .name:           _ZN7rocprim17ROCPRIM_400000_NS6detail17trampoline_kernelINS0_14default_configENS1_22reduce_config_selectorIN6thrust23THRUST_200600_302600_NS5tupleIbffNS6_9null_typeES8_S8_S8_S8_S8_S8_EEEEZNS1_11reduce_implILb1ES3_PS9_SC_S9_12reduce_tupleIifEEE10hipError_tPvRmT1_T2_T3_mT4_P12ihipStream_tbEUlT_E0_NS1_11comp_targetILNS1_3genE10ELNS1_11target_archE1201ELNS1_3gpuE5ELNS1_3repE0EEENS1_30default_config_static_selectorELNS0_4arch9wavefront6targetE0EEEvSI_
    .private_segment_fixed_size: 0
    .sgpr_count:     0
    .sgpr_spill_count: 0
    .symbol:         _ZN7rocprim17ROCPRIM_400000_NS6detail17trampoline_kernelINS0_14default_configENS1_22reduce_config_selectorIN6thrust23THRUST_200600_302600_NS5tupleIbffNS6_9null_typeES8_S8_S8_S8_S8_S8_EEEEZNS1_11reduce_implILb1ES3_PS9_SC_S9_12reduce_tupleIifEEE10hipError_tPvRmT1_T2_T3_mT4_P12ihipStream_tbEUlT_E0_NS1_11comp_targetILNS1_3genE10ELNS1_11target_archE1201ELNS1_3gpuE5ELNS1_3repE0EEENS1_30default_config_static_selectorELNS0_4arch9wavefront6targetE0EEEvSI_.kd
    .uniform_work_group_size: 1
    .uses_dynamic_stack: false
    .vgpr_count:     0
    .vgpr_spill_count: 0
    .wavefront_size: 32
    .workgroup_processor_mode: 1
  - .args:
      - .offset:         0
        .size:           64
        .value_kind:     by_value
    .group_segment_fixed_size: 0
    .kernarg_segment_align: 8
    .kernarg_segment_size: 64
    .language:       OpenCL C
    .language_version:
      - 2
      - 0
    .max_flat_workgroup_size: 256
    .name:           _ZN7rocprim17ROCPRIM_400000_NS6detail17trampoline_kernelINS0_14default_configENS1_22reduce_config_selectorIN6thrust23THRUST_200600_302600_NS5tupleIbffNS6_9null_typeES8_S8_S8_S8_S8_S8_EEEEZNS1_11reduce_implILb1ES3_PS9_SC_S9_12reduce_tupleIifEEE10hipError_tPvRmT1_T2_T3_mT4_P12ihipStream_tbEUlT_E0_NS1_11comp_targetILNS1_3genE10ELNS1_11target_archE1200ELNS1_3gpuE4ELNS1_3repE0EEENS1_30default_config_static_selectorELNS0_4arch9wavefront6targetE0EEEvSI_
    .private_segment_fixed_size: 0
    .sgpr_count:     0
    .sgpr_spill_count: 0
    .symbol:         _ZN7rocprim17ROCPRIM_400000_NS6detail17trampoline_kernelINS0_14default_configENS1_22reduce_config_selectorIN6thrust23THRUST_200600_302600_NS5tupleIbffNS6_9null_typeES8_S8_S8_S8_S8_S8_EEEEZNS1_11reduce_implILb1ES3_PS9_SC_S9_12reduce_tupleIifEEE10hipError_tPvRmT1_T2_T3_mT4_P12ihipStream_tbEUlT_E0_NS1_11comp_targetILNS1_3genE10ELNS1_11target_archE1200ELNS1_3gpuE4ELNS1_3repE0EEENS1_30default_config_static_selectorELNS0_4arch9wavefront6targetE0EEEvSI_.kd
    .uniform_work_group_size: 1
    .uses_dynamic_stack: false
    .vgpr_count:     0
    .vgpr_spill_count: 0
    .wavefront_size: 32
    .workgroup_processor_mode: 1
  - .args:
      - .offset:         0
        .size:           64
        .value_kind:     by_value
    .group_segment_fixed_size: 0
    .kernarg_segment_align: 8
    .kernarg_segment_size: 64
    .language:       OpenCL C
    .language_version:
      - 2
      - 0
    .max_flat_workgroup_size: 256
    .name:           _ZN7rocprim17ROCPRIM_400000_NS6detail17trampoline_kernelINS0_14default_configENS1_22reduce_config_selectorIN6thrust23THRUST_200600_302600_NS5tupleIbffNS6_9null_typeES8_S8_S8_S8_S8_S8_EEEEZNS1_11reduce_implILb1ES3_PS9_SC_S9_12reduce_tupleIifEEE10hipError_tPvRmT1_T2_T3_mT4_P12ihipStream_tbEUlT_E0_NS1_11comp_targetILNS1_3genE9ELNS1_11target_archE1100ELNS1_3gpuE3ELNS1_3repE0EEENS1_30default_config_static_selectorELNS0_4arch9wavefront6targetE0EEEvSI_
    .private_segment_fixed_size: 0
    .sgpr_count:     0
    .sgpr_spill_count: 0
    .symbol:         _ZN7rocprim17ROCPRIM_400000_NS6detail17trampoline_kernelINS0_14default_configENS1_22reduce_config_selectorIN6thrust23THRUST_200600_302600_NS5tupleIbffNS6_9null_typeES8_S8_S8_S8_S8_S8_EEEEZNS1_11reduce_implILb1ES3_PS9_SC_S9_12reduce_tupleIifEEE10hipError_tPvRmT1_T2_T3_mT4_P12ihipStream_tbEUlT_E0_NS1_11comp_targetILNS1_3genE9ELNS1_11target_archE1100ELNS1_3gpuE3ELNS1_3repE0EEENS1_30default_config_static_selectorELNS0_4arch9wavefront6targetE0EEEvSI_.kd
    .uniform_work_group_size: 1
    .uses_dynamic_stack: false
    .vgpr_count:     0
    .vgpr_spill_count: 0
    .wavefront_size: 32
    .workgroup_processor_mode: 1
  - .args:
      - .offset:         0
        .size:           64
        .value_kind:     by_value
    .group_segment_fixed_size: 192
    .kernarg_segment_align: 8
    .kernarg_segment_size: 64
    .language:       OpenCL C
    .language_version:
      - 2
      - 0
    .max_flat_workgroup_size: 256
    .name:           _ZN7rocprim17ROCPRIM_400000_NS6detail17trampoline_kernelINS0_14default_configENS1_22reduce_config_selectorIN6thrust23THRUST_200600_302600_NS5tupleIbffNS6_9null_typeES8_S8_S8_S8_S8_S8_EEEEZNS1_11reduce_implILb1ES3_PS9_SC_S9_12reduce_tupleIifEEE10hipError_tPvRmT1_T2_T3_mT4_P12ihipStream_tbEUlT_E0_NS1_11comp_targetILNS1_3genE8ELNS1_11target_archE1030ELNS1_3gpuE2ELNS1_3repE0EEENS1_30default_config_static_selectorELNS0_4arch9wavefront6targetE0EEEvSI_
    .private_segment_fixed_size: 0
    .sgpr_count:     22
    .sgpr_spill_count: 0
    .symbol:         _ZN7rocprim17ROCPRIM_400000_NS6detail17trampoline_kernelINS0_14default_configENS1_22reduce_config_selectorIN6thrust23THRUST_200600_302600_NS5tupleIbffNS6_9null_typeES8_S8_S8_S8_S8_S8_EEEEZNS1_11reduce_implILb1ES3_PS9_SC_S9_12reduce_tupleIifEEE10hipError_tPvRmT1_T2_T3_mT4_P12ihipStream_tbEUlT_E0_NS1_11comp_targetILNS1_3genE8ELNS1_11target_archE1030ELNS1_3gpuE2ELNS1_3repE0EEENS1_30default_config_static_selectorELNS0_4arch9wavefront6targetE0EEEvSI_.kd
    .uniform_work_group_size: 1
    .uses_dynamic_stack: false
    .vgpr_count:     13
    .vgpr_spill_count: 0
    .wavefront_size: 32
    .workgroup_processor_mode: 1
  - .args:
      - .offset:         0
        .size:           48
        .value_kind:     by_value
    .group_segment_fixed_size: 0
    .kernarg_segment_align: 8
    .kernarg_segment_size: 48
    .language:       OpenCL C
    .language_version:
      - 2
      - 0
    .max_flat_workgroup_size: 128
    .name:           _ZN7rocprim17ROCPRIM_400000_NS6detail17trampoline_kernelINS0_14default_configENS1_22reduce_config_selectorIN6thrust23THRUST_200600_302600_NS5tupleIbffNS6_9null_typeES8_S8_S8_S8_S8_S8_EEEEZNS1_11reduce_implILb1ES3_PS9_SC_S9_12reduce_tupleIifEEE10hipError_tPvRmT1_T2_T3_mT4_P12ihipStream_tbEUlT_E1_NS1_11comp_targetILNS1_3genE0ELNS1_11target_archE4294967295ELNS1_3gpuE0ELNS1_3repE0EEENS1_30default_config_static_selectorELNS0_4arch9wavefront6targetE0EEEvSI_
    .private_segment_fixed_size: 0
    .sgpr_count:     0
    .sgpr_spill_count: 0
    .symbol:         _ZN7rocprim17ROCPRIM_400000_NS6detail17trampoline_kernelINS0_14default_configENS1_22reduce_config_selectorIN6thrust23THRUST_200600_302600_NS5tupleIbffNS6_9null_typeES8_S8_S8_S8_S8_S8_EEEEZNS1_11reduce_implILb1ES3_PS9_SC_S9_12reduce_tupleIifEEE10hipError_tPvRmT1_T2_T3_mT4_P12ihipStream_tbEUlT_E1_NS1_11comp_targetILNS1_3genE0ELNS1_11target_archE4294967295ELNS1_3gpuE0ELNS1_3repE0EEENS1_30default_config_static_selectorELNS0_4arch9wavefront6targetE0EEEvSI_.kd
    .uniform_work_group_size: 1
    .uses_dynamic_stack: false
    .vgpr_count:     0
    .vgpr_spill_count: 0
    .wavefront_size: 32
    .workgroup_processor_mode: 1
  - .args:
      - .offset:         0
        .size:           48
        .value_kind:     by_value
    .group_segment_fixed_size: 0
    .kernarg_segment_align: 8
    .kernarg_segment_size: 48
    .language:       OpenCL C
    .language_version:
      - 2
      - 0
    .max_flat_workgroup_size: 256
    .name:           _ZN7rocprim17ROCPRIM_400000_NS6detail17trampoline_kernelINS0_14default_configENS1_22reduce_config_selectorIN6thrust23THRUST_200600_302600_NS5tupleIbffNS6_9null_typeES8_S8_S8_S8_S8_S8_EEEEZNS1_11reduce_implILb1ES3_PS9_SC_S9_12reduce_tupleIifEEE10hipError_tPvRmT1_T2_T3_mT4_P12ihipStream_tbEUlT_E1_NS1_11comp_targetILNS1_3genE5ELNS1_11target_archE942ELNS1_3gpuE9ELNS1_3repE0EEENS1_30default_config_static_selectorELNS0_4arch9wavefront6targetE0EEEvSI_
    .private_segment_fixed_size: 0
    .sgpr_count:     0
    .sgpr_spill_count: 0
    .symbol:         _ZN7rocprim17ROCPRIM_400000_NS6detail17trampoline_kernelINS0_14default_configENS1_22reduce_config_selectorIN6thrust23THRUST_200600_302600_NS5tupleIbffNS6_9null_typeES8_S8_S8_S8_S8_S8_EEEEZNS1_11reduce_implILb1ES3_PS9_SC_S9_12reduce_tupleIifEEE10hipError_tPvRmT1_T2_T3_mT4_P12ihipStream_tbEUlT_E1_NS1_11comp_targetILNS1_3genE5ELNS1_11target_archE942ELNS1_3gpuE9ELNS1_3repE0EEENS1_30default_config_static_selectorELNS0_4arch9wavefront6targetE0EEEvSI_.kd
    .uniform_work_group_size: 1
    .uses_dynamic_stack: false
    .vgpr_count:     0
    .vgpr_spill_count: 0
    .wavefront_size: 32
    .workgroup_processor_mode: 1
  - .args:
      - .offset:         0
        .size:           48
        .value_kind:     by_value
    .group_segment_fixed_size: 0
    .kernarg_segment_align: 8
    .kernarg_segment_size: 48
    .language:       OpenCL C
    .language_version:
      - 2
      - 0
    .max_flat_workgroup_size: 256
    .name:           _ZN7rocprim17ROCPRIM_400000_NS6detail17trampoline_kernelINS0_14default_configENS1_22reduce_config_selectorIN6thrust23THRUST_200600_302600_NS5tupleIbffNS6_9null_typeES8_S8_S8_S8_S8_S8_EEEEZNS1_11reduce_implILb1ES3_PS9_SC_S9_12reduce_tupleIifEEE10hipError_tPvRmT1_T2_T3_mT4_P12ihipStream_tbEUlT_E1_NS1_11comp_targetILNS1_3genE4ELNS1_11target_archE910ELNS1_3gpuE8ELNS1_3repE0EEENS1_30default_config_static_selectorELNS0_4arch9wavefront6targetE0EEEvSI_
    .private_segment_fixed_size: 0
    .sgpr_count:     0
    .sgpr_spill_count: 0
    .symbol:         _ZN7rocprim17ROCPRIM_400000_NS6detail17trampoline_kernelINS0_14default_configENS1_22reduce_config_selectorIN6thrust23THRUST_200600_302600_NS5tupleIbffNS6_9null_typeES8_S8_S8_S8_S8_S8_EEEEZNS1_11reduce_implILb1ES3_PS9_SC_S9_12reduce_tupleIifEEE10hipError_tPvRmT1_T2_T3_mT4_P12ihipStream_tbEUlT_E1_NS1_11comp_targetILNS1_3genE4ELNS1_11target_archE910ELNS1_3gpuE8ELNS1_3repE0EEENS1_30default_config_static_selectorELNS0_4arch9wavefront6targetE0EEEvSI_.kd
    .uniform_work_group_size: 1
    .uses_dynamic_stack: false
    .vgpr_count:     0
    .vgpr_spill_count: 0
    .wavefront_size: 32
    .workgroup_processor_mode: 1
  - .args:
      - .offset:         0
        .size:           48
        .value_kind:     by_value
    .group_segment_fixed_size: 0
    .kernarg_segment_align: 8
    .kernarg_segment_size: 48
    .language:       OpenCL C
    .language_version:
      - 2
      - 0
    .max_flat_workgroup_size: 128
    .name:           _ZN7rocprim17ROCPRIM_400000_NS6detail17trampoline_kernelINS0_14default_configENS1_22reduce_config_selectorIN6thrust23THRUST_200600_302600_NS5tupleIbffNS6_9null_typeES8_S8_S8_S8_S8_S8_EEEEZNS1_11reduce_implILb1ES3_PS9_SC_S9_12reduce_tupleIifEEE10hipError_tPvRmT1_T2_T3_mT4_P12ihipStream_tbEUlT_E1_NS1_11comp_targetILNS1_3genE3ELNS1_11target_archE908ELNS1_3gpuE7ELNS1_3repE0EEENS1_30default_config_static_selectorELNS0_4arch9wavefront6targetE0EEEvSI_
    .private_segment_fixed_size: 0
    .sgpr_count:     0
    .sgpr_spill_count: 0
    .symbol:         _ZN7rocprim17ROCPRIM_400000_NS6detail17trampoline_kernelINS0_14default_configENS1_22reduce_config_selectorIN6thrust23THRUST_200600_302600_NS5tupleIbffNS6_9null_typeES8_S8_S8_S8_S8_S8_EEEEZNS1_11reduce_implILb1ES3_PS9_SC_S9_12reduce_tupleIifEEE10hipError_tPvRmT1_T2_T3_mT4_P12ihipStream_tbEUlT_E1_NS1_11comp_targetILNS1_3genE3ELNS1_11target_archE908ELNS1_3gpuE7ELNS1_3repE0EEENS1_30default_config_static_selectorELNS0_4arch9wavefront6targetE0EEEvSI_.kd
    .uniform_work_group_size: 1
    .uses_dynamic_stack: false
    .vgpr_count:     0
    .vgpr_spill_count: 0
    .wavefront_size: 32
    .workgroup_processor_mode: 1
  - .args:
      - .offset:         0
        .size:           48
        .value_kind:     by_value
    .group_segment_fixed_size: 0
    .kernarg_segment_align: 8
    .kernarg_segment_size: 48
    .language:       OpenCL C
    .language_version:
      - 2
      - 0
    .max_flat_workgroup_size: 128
    .name:           _ZN7rocprim17ROCPRIM_400000_NS6detail17trampoline_kernelINS0_14default_configENS1_22reduce_config_selectorIN6thrust23THRUST_200600_302600_NS5tupleIbffNS6_9null_typeES8_S8_S8_S8_S8_S8_EEEEZNS1_11reduce_implILb1ES3_PS9_SC_S9_12reduce_tupleIifEEE10hipError_tPvRmT1_T2_T3_mT4_P12ihipStream_tbEUlT_E1_NS1_11comp_targetILNS1_3genE2ELNS1_11target_archE906ELNS1_3gpuE6ELNS1_3repE0EEENS1_30default_config_static_selectorELNS0_4arch9wavefront6targetE0EEEvSI_
    .private_segment_fixed_size: 0
    .sgpr_count:     0
    .sgpr_spill_count: 0
    .symbol:         _ZN7rocprim17ROCPRIM_400000_NS6detail17trampoline_kernelINS0_14default_configENS1_22reduce_config_selectorIN6thrust23THRUST_200600_302600_NS5tupleIbffNS6_9null_typeES8_S8_S8_S8_S8_S8_EEEEZNS1_11reduce_implILb1ES3_PS9_SC_S9_12reduce_tupleIifEEE10hipError_tPvRmT1_T2_T3_mT4_P12ihipStream_tbEUlT_E1_NS1_11comp_targetILNS1_3genE2ELNS1_11target_archE906ELNS1_3gpuE6ELNS1_3repE0EEENS1_30default_config_static_selectorELNS0_4arch9wavefront6targetE0EEEvSI_.kd
    .uniform_work_group_size: 1
    .uses_dynamic_stack: false
    .vgpr_count:     0
    .vgpr_spill_count: 0
    .wavefront_size: 32
    .workgroup_processor_mode: 1
  - .args:
      - .offset:         0
        .size:           48
        .value_kind:     by_value
    .group_segment_fixed_size: 0
    .kernarg_segment_align: 8
    .kernarg_segment_size: 48
    .language:       OpenCL C
    .language_version:
      - 2
      - 0
    .max_flat_workgroup_size: 256
    .name:           _ZN7rocprim17ROCPRIM_400000_NS6detail17trampoline_kernelINS0_14default_configENS1_22reduce_config_selectorIN6thrust23THRUST_200600_302600_NS5tupleIbffNS6_9null_typeES8_S8_S8_S8_S8_S8_EEEEZNS1_11reduce_implILb1ES3_PS9_SC_S9_12reduce_tupleIifEEE10hipError_tPvRmT1_T2_T3_mT4_P12ihipStream_tbEUlT_E1_NS1_11comp_targetILNS1_3genE10ELNS1_11target_archE1201ELNS1_3gpuE5ELNS1_3repE0EEENS1_30default_config_static_selectorELNS0_4arch9wavefront6targetE0EEEvSI_
    .private_segment_fixed_size: 0
    .sgpr_count:     0
    .sgpr_spill_count: 0
    .symbol:         _ZN7rocprim17ROCPRIM_400000_NS6detail17trampoline_kernelINS0_14default_configENS1_22reduce_config_selectorIN6thrust23THRUST_200600_302600_NS5tupleIbffNS6_9null_typeES8_S8_S8_S8_S8_S8_EEEEZNS1_11reduce_implILb1ES3_PS9_SC_S9_12reduce_tupleIifEEE10hipError_tPvRmT1_T2_T3_mT4_P12ihipStream_tbEUlT_E1_NS1_11comp_targetILNS1_3genE10ELNS1_11target_archE1201ELNS1_3gpuE5ELNS1_3repE0EEENS1_30default_config_static_selectorELNS0_4arch9wavefront6targetE0EEEvSI_.kd
    .uniform_work_group_size: 1
    .uses_dynamic_stack: false
    .vgpr_count:     0
    .vgpr_spill_count: 0
    .wavefront_size: 32
    .workgroup_processor_mode: 1
  - .args:
      - .offset:         0
        .size:           48
        .value_kind:     by_value
    .group_segment_fixed_size: 0
    .kernarg_segment_align: 8
    .kernarg_segment_size: 48
    .language:       OpenCL C
    .language_version:
      - 2
      - 0
    .max_flat_workgroup_size: 256
    .name:           _ZN7rocprim17ROCPRIM_400000_NS6detail17trampoline_kernelINS0_14default_configENS1_22reduce_config_selectorIN6thrust23THRUST_200600_302600_NS5tupleIbffNS6_9null_typeES8_S8_S8_S8_S8_S8_EEEEZNS1_11reduce_implILb1ES3_PS9_SC_S9_12reduce_tupleIifEEE10hipError_tPvRmT1_T2_T3_mT4_P12ihipStream_tbEUlT_E1_NS1_11comp_targetILNS1_3genE10ELNS1_11target_archE1200ELNS1_3gpuE4ELNS1_3repE0EEENS1_30default_config_static_selectorELNS0_4arch9wavefront6targetE0EEEvSI_
    .private_segment_fixed_size: 0
    .sgpr_count:     0
    .sgpr_spill_count: 0
    .symbol:         _ZN7rocprim17ROCPRIM_400000_NS6detail17trampoline_kernelINS0_14default_configENS1_22reduce_config_selectorIN6thrust23THRUST_200600_302600_NS5tupleIbffNS6_9null_typeES8_S8_S8_S8_S8_S8_EEEEZNS1_11reduce_implILb1ES3_PS9_SC_S9_12reduce_tupleIifEEE10hipError_tPvRmT1_T2_T3_mT4_P12ihipStream_tbEUlT_E1_NS1_11comp_targetILNS1_3genE10ELNS1_11target_archE1200ELNS1_3gpuE4ELNS1_3repE0EEENS1_30default_config_static_selectorELNS0_4arch9wavefront6targetE0EEEvSI_.kd
    .uniform_work_group_size: 1
    .uses_dynamic_stack: false
    .vgpr_count:     0
    .vgpr_spill_count: 0
    .wavefront_size: 32
    .workgroup_processor_mode: 1
  - .args:
      - .offset:         0
        .size:           48
        .value_kind:     by_value
    .group_segment_fixed_size: 0
    .kernarg_segment_align: 8
    .kernarg_segment_size: 48
    .language:       OpenCL C
    .language_version:
      - 2
      - 0
    .max_flat_workgroup_size: 256
    .name:           _ZN7rocprim17ROCPRIM_400000_NS6detail17trampoline_kernelINS0_14default_configENS1_22reduce_config_selectorIN6thrust23THRUST_200600_302600_NS5tupleIbffNS6_9null_typeES8_S8_S8_S8_S8_S8_EEEEZNS1_11reduce_implILb1ES3_PS9_SC_S9_12reduce_tupleIifEEE10hipError_tPvRmT1_T2_T3_mT4_P12ihipStream_tbEUlT_E1_NS1_11comp_targetILNS1_3genE9ELNS1_11target_archE1100ELNS1_3gpuE3ELNS1_3repE0EEENS1_30default_config_static_selectorELNS0_4arch9wavefront6targetE0EEEvSI_
    .private_segment_fixed_size: 0
    .sgpr_count:     0
    .sgpr_spill_count: 0
    .symbol:         _ZN7rocprim17ROCPRIM_400000_NS6detail17trampoline_kernelINS0_14default_configENS1_22reduce_config_selectorIN6thrust23THRUST_200600_302600_NS5tupleIbffNS6_9null_typeES8_S8_S8_S8_S8_S8_EEEEZNS1_11reduce_implILb1ES3_PS9_SC_S9_12reduce_tupleIifEEE10hipError_tPvRmT1_T2_T3_mT4_P12ihipStream_tbEUlT_E1_NS1_11comp_targetILNS1_3genE9ELNS1_11target_archE1100ELNS1_3gpuE3ELNS1_3repE0EEENS1_30default_config_static_selectorELNS0_4arch9wavefront6targetE0EEEvSI_.kd
    .uniform_work_group_size: 1
    .uses_dynamic_stack: false
    .vgpr_count:     0
    .vgpr_spill_count: 0
    .wavefront_size: 32
    .workgroup_processor_mode: 1
  - .args:
      - .offset:         0
        .size:           48
        .value_kind:     by_value
    .group_segment_fixed_size: 576
    .kernarg_segment_align: 8
    .kernarg_segment_size: 48
    .language:       OpenCL C
    .language_version:
      - 2
      - 0
    .max_flat_workgroup_size: 256
    .name:           _ZN7rocprim17ROCPRIM_400000_NS6detail17trampoline_kernelINS0_14default_configENS1_22reduce_config_selectorIN6thrust23THRUST_200600_302600_NS5tupleIbffNS6_9null_typeES8_S8_S8_S8_S8_S8_EEEEZNS1_11reduce_implILb1ES3_PS9_SC_S9_12reduce_tupleIifEEE10hipError_tPvRmT1_T2_T3_mT4_P12ihipStream_tbEUlT_E1_NS1_11comp_targetILNS1_3genE8ELNS1_11target_archE1030ELNS1_3gpuE2ELNS1_3repE0EEENS1_30default_config_static_selectorELNS0_4arch9wavefront6targetE0EEEvSI_
    .private_segment_fixed_size: 0
    .sgpr_count:     33
    .sgpr_spill_count: 0
    .symbol:         _ZN7rocprim17ROCPRIM_400000_NS6detail17trampoline_kernelINS0_14default_configENS1_22reduce_config_selectorIN6thrust23THRUST_200600_302600_NS5tupleIbffNS6_9null_typeES8_S8_S8_S8_S8_S8_EEEEZNS1_11reduce_implILb1ES3_PS9_SC_S9_12reduce_tupleIifEEE10hipError_tPvRmT1_T2_T3_mT4_P12ihipStream_tbEUlT_E1_NS1_11comp_targetILNS1_3genE8ELNS1_11target_archE1030ELNS1_3gpuE2ELNS1_3repE0EEENS1_30default_config_static_selectorELNS0_4arch9wavefront6targetE0EEEvSI_.kd
    .uniform_work_group_size: 1
    .uses_dynamic_stack: false
    .vgpr_count:     51
    .vgpr_spill_count: 0
    .wavefront_size: 32
    .workgroup_processor_mode: 1
  - .args:
      - .offset:         0
        .size:           80
        .value_kind:     by_value
    .group_segment_fixed_size: 0
    .kernarg_segment_align: 8
    .kernarg_segment_size: 80
    .language:       OpenCL C
    .language_version:
      - 2
      - 0
    .max_flat_workgroup_size: 128
    .name:           _ZN7rocprim17ROCPRIM_400000_NS6detail17trampoline_kernelINS0_14default_configENS1_22reduce_config_selectorIN6thrust23THRUST_200600_302600_NS5tupleIbffNS6_9null_typeES8_S8_S8_S8_S8_S8_EEEEZNS1_11reduce_implILb1ES3_NS6_11hip_rocprim26transform_input_iterator_tIS9_NS6_12zip_iteratorINS7_INS6_17counting_iteratorIiNS6_11use_defaultESG_SG_EENS6_6detail15normal_iteratorINS6_10device_ptrIfEEEES8_S8_S8_S8_S8_S8_S8_S8_EEEE15transform_tupleIifEEEPS9_S9_12reduce_tupleIifEEE10hipError_tPvRmT1_T2_T3_mT4_P12ihipStream_tbEUlT_E0_NS1_11comp_targetILNS1_3genE0ELNS1_11target_archE4294967295ELNS1_3gpuE0ELNS1_3repE0EEENS1_30default_config_static_selectorELNS0_4arch9wavefront6targetE0EEEvSY_
    .private_segment_fixed_size: 0
    .sgpr_count:     0
    .sgpr_spill_count: 0
    .symbol:         _ZN7rocprim17ROCPRIM_400000_NS6detail17trampoline_kernelINS0_14default_configENS1_22reduce_config_selectorIN6thrust23THRUST_200600_302600_NS5tupleIbffNS6_9null_typeES8_S8_S8_S8_S8_S8_EEEEZNS1_11reduce_implILb1ES3_NS6_11hip_rocprim26transform_input_iterator_tIS9_NS6_12zip_iteratorINS7_INS6_17counting_iteratorIiNS6_11use_defaultESG_SG_EENS6_6detail15normal_iteratorINS6_10device_ptrIfEEEES8_S8_S8_S8_S8_S8_S8_S8_EEEE15transform_tupleIifEEEPS9_S9_12reduce_tupleIifEEE10hipError_tPvRmT1_T2_T3_mT4_P12ihipStream_tbEUlT_E0_NS1_11comp_targetILNS1_3genE0ELNS1_11target_archE4294967295ELNS1_3gpuE0ELNS1_3repE0EEENS1_30default_config_static_selectorELNS0_4arch9wavefront6targetE0EEEvSY_.kd
    .uniform_work_group_size: 1
    .uses_dynamic_stack: false
    .vgpr_count:     0
    .vgpr_spill_count: 0
    .wavefront_size: 32
    .workgroup_processor_mode: 1
  - .args:
      - .offset:         0
        .size:           80
        .value_kind:     by_value
    .group_segment_fixed_size: 0
    .kernarg_segment_align: 8
    .kernarg_segment_size: 80
    .language:       OpenCL C
    .language_version:
      - 2
      - 0
    .max_flat_workgroup_size: 256
    .name:           _ZN7rocprim17ROCPRIM_400000_NS6detail17trampoline_kernelINS0_14default_configENS1_22reduce_config_selectorIN6thrust23THRUST_200600_302600_NS5tupleIbffNS6_9null_typeES8_S8_S8_S8_S8_S8_EEEEZNS1_11reduce_implILb1ES3_NS6_11hip_rocprim26transform_input_iterator_tIS9_NS6_12zip_iteratorINS7_INS6_17counting_iteratorIiNS6_11use_defaultESG_SG_EENS6_6detail15normal_iteratorINS6_10device_ptrIfEEEES8_S8_S8_S8_S8_S8_S8_S8_EEEE15transform_tupleIifEEEPS9_S9_12reduce_tupleIifEEE10hipError_tPvRmT1_T2_T3_mT4_P12ihipStream_tbEUlT_E0_NS1_11comp_targetILNS1_3genE5ELNS1_11target_archE942ELNS1_3gpuE9ELNS1_3repE0EEENS1_30default_config_static_selectorELNS0_4arch9wavefront6targetE0EEEvSY_
    .private_segment_fixed_size: 0
    .sgpr_count:     0
    .sgpr_spill_count: 0
    .symbol:         _ZN7rocprim17ROCPRIM_400000_NS6detail17trampoline_kernelINS0_14default_configENS1_22reduce_config_selectorIN6thrust23THRUST_200600_302600_NS5tupleIbffNS6_9null_typeES8_S8_S8_S8_S8_S8_EEEEZNS1_11reduce_implILb1ES3_NS6_11hip_rocprim26transform_input_iterator_tIS9_NS6_12zip_iteratorINS7_INS6_17counting_iteratorIiNS6_11use_defaultESG_SG_EENS6_6detail15normal_iteratorINS6_10device_ptrIfEEEES8_S8_S8_S8_S8_S8_S8_S8_EEEE15transform_tupleIifEEEPS9_S9_12reduce_tupleIifEEE10hipError_tPvRmT1_T2_T3_mT4_P12ihipStream_tbEUlT_E0_NS1_11comp_targetILNS1_3genE5ELNS1_11target_archE942ELNS1_3gpuE9ELNS1_3repE0EEENS1_30default_config_static_selectorELNS0_4arch9wavefront6targetE0EEEvSY_.kd
    .uniform_work_group_size: 1
    .uses_dynamic_stack: false
    .vgpr_count:     0
    .vgpr_spill_count: 0
    .wavefront_size: 32
    .workgroup_processor_mode: 1
  - .args:
      - .offset:         0
        .size:           80
        .value_kind:     by_value
    .group_segment_fixed_size: 0
    .kernarg_segment_align: 8
    .kernarg_segment_size: 80
    .language:       OpenCL C
    .language_version:
      - 2
      - 0
    .max_flat_workgroup_size: 256
    .name:           _ZN7rocprim17ROCPRIM_400000_NS6detail17trampoline_kernelINS0_14default_configENS1_22reduce_config_selectorIN6thrust23THRUST_200600_302600_NS5tupleIbffNS6_9null_typeES8_S8_S8_S8_S8_S8_EEEEZNS1_11reduce_implILb1ES3_NS6_11hip_rocprim26transform_input_iterator_tIS9_NS6_12zip_iteratorINS7_INS6_17counting_iteratorIiNS6_11use_defaultESG_SG_EENS6_6detail15normal_iteratorINS6_10device_ptrIfEEEES8_S8_S8_S8_S8_S8_S8_S8_EEEE15transform_tupleIifEEEPS9_S9_12reduce_tupleIifEEE10hipError_tPvRmT1_T2_T3_mT4_P12ihipStream_tbEUlT_E0_NS1_11comp_targetILNS1_3genE4ELNS1_11target_archE910ELNS1_3gpuE8ELNS1_3repE0EEENS1_30default_config_static_selectorELNS0_4arch9wavefront6targetE0EEEvSY_
    .private_segment_fixed_size: 0
    .sgpr_count:     0
    .sgpr_spill_count: 0
    .symbol:         _ZN7rocprim17ROCPRIM_400000_NS6detail17trampoline_kernelINS0_14default_configENS1_22reduce_config_selectorIN6thrust23THRUST_200600_302600_NS5tupleIbffNS6_9null_typeES8_S8_S8_S8_S8_S8_EEEEZNS1_11reduce_implILb1ES3_NS6_11hip_rocprim26transform_input_iterator_tIS9_NS6_12zip_iteratorINS7_INS6_17counting_iteratorIiNS6_11use_defaultESG_SG_EENS6_6detail15normal_iteratorINS6_10device_ptrIfEEEES8_S8_S8_S8_S8_S8_S8_S8_EEEE15transform_tupleIifEEEPS9_S9_12reduce_tupleIifEEE10hipError_tPvRmT1_T2_T3_mT4_P12ihipStream_tbEUlT_E0_NS1_11comp_targetILNS1_3genE4ELNS1_11target_archE910ELNS1_3gpuE8ELNS1_3repE0EEENS1_30default_config_static_selectorELNS0_4arch9wavefront6targetE0EEEvSY_.kd
    .uniform_work_group_size: 1
    .uses_dynamic_stack: false
    .vgpr_count:     0
    .vgpr_spill_count: 0
    .wavefront_size: 32
    .workgroup_processor_mode: 1
  - .args:
      - .offset:         0
        .size:           80
        .value_kind:     by_value
    .group_segment_fixed_size: 0
    .kernarg_segment_align: 8
    .kernarg_segment_size: 80
    .language:       OpenCL C
    .language_version:
      - 2
      - 0
    .max_flat_workgroup_size: 128
    .name:           _ZN7rocprim17ROCPRIM_400000_NS6detail17trampoline_kernelINS0_14default_configENS1_22reduce_config_selectorIN6thrust23THRUST_200600_302600_NS5tupleIbffNS6_9null_typeES8_S8_S8_S8_S8_S8_EEEEZNS1_11reduce_implILb1ES3_NS6_11hip_rocprim26transform_input_iterator_tIS9_NS6_12zip_iteratorINS7_INS6_17counting_iteratorIiNS6_11use_defaultESG_SG_EENS6_6detail15normal_iteratorINS6_10device_ptrIfEEEES8_S8_S8_S8_S8_S8_S8_S8_EEEE15transform_tupleIifEEEPS9_S9_12reduce_tupleIifEEE10hipError_tPvRmT1_T2_T3_mT4_P12ihipStream_tbEUlT_E0_NS1_11comp_targetILNS1_3genE3ELNS1_11target_archE908ELNS1_3gpuE7ELNS1_3repE0EEENS1_30default_config_static_selectorELNS0_4arch9wavefront6targetE0EEEvSY_
    .private_segment_fixed_size: 0
    .sgpr_count:     0
    .sgpr_spill_count: 0
    .symbol:         _ZN7rocprim17ROCPRIM_400000_NS6detail17trampoline_kernelINS0_14default_configENS1_22reduce_config_selectorIN6thrust23THRUST_200600_302600_NS5tupleIbffNS6_9null_typeES8_S8_S8_S8_S8_S8_EEEEZNS1_11reduce_implILb1ES3_NS6_11hip_rocprim26transform_input_iterator_tIS9_NS6_12zip_iteratorINS7_INS6_17counting_iteratorIiNS6_11use_defaultESG_SG_EENS6_6detail15normal_iteratorINS6_10device_ptrIfEEEES8_S8_S8_S8_S8_S8_S8_S8_EEEE15transform_tupleIifEEEPS9_S9_12reduce_tupleIifEEE10hipError_tPvRmT1_T2_T3_mT4_P12ihipStream_tbEUlT_E0_NS1_11comp_targetILNS1_3genE3ELNS1_11target_archE908ELNS1_3gpuE7ELNS1_3repE0EEENS1_30default_config_static_selectorELNS0_4arch9wavefront6targetE0EEEvSY_.kd
    .uniform_work_group_size: 1
    .uses_dynamic_stack: false
    .vgpr_count:     0
    .vgpr_spill_count: 0
    .wavefront_size: 32
    .workgroup_processor_mode: 1
  - .args:
      - .offset:         0
        .size:           80
        .value_kind:     by_value
    .group_segment_fixed_size: 0
    .kernarg_segment_align: 8
    .kernarg_segment_size: 80
    .language:       OpenCL C
    .language_version:
      - 2
      - 0
    .max_flat_workgroup_size: 128
    .name:           _ZN7rocprim17ROCPRIM_400000_NS6detail17trampoline_kernelINS0_14default_configENS1_22reduce_config_selectorIN6thrust23THRUST_200600_302600_NS5tupleIbffNS6_9null_typeES8_S8_S8_S8_S8_S8_EEEEZNS1_11reduce_implILb1ES3_NS6_11hip_rocprim26transform_input_iterator_tIS9_NS6_12zip_iteratorINS7_INS6_17counting_iteratorIiNS6_11use_defaultESG_SG_EENS6_6detail15normal_iteratorINS6_10device_ptrIfEEEES8_S8_S8_S8_S8_S8_S8_S8_EEEE15transform_tupleIifEEEPS9_S9_12reduce_tupleIifEEE10hipError_tPvRmT1_T2_T3_mT4_P12ihipStream_tbEUlT_E0_NS1_11comp_targetILNS1_3genE2ELNS1_11target_archE906ELNS1_3gpuE6ELNS1_3repE0EEENS1_30default_config_static_selectorELNS0_4arch9wavefront6targetE0EEEvSY_
    .private_segment_fixed_size: 0
    .sgpr_count:     0
    .sgpr_spill_count: 0
    .symbol:         _ZN7rocprim17ROCPRIM_400000_NS6detail17trampoline_kernelINS0_14default_configENS1_22reduce_config_selectorIN6thrust23THRUST_200600_302600_NS5tupleIbffNS6_9null_typeES8_S8_S8_S8_S8_S8_EEEEZNS1_11reduce_implILb1ES3_NS6_11hip_rocprim26transform_input_iterator_tIS9_NS6_12zip_iteratorINS7_INS6_17counting_iteratorIiNS6_11use_defaultESG_SG_EENS6_6detail15normal_iteratorINS6_10device_ptrIfEEEES8_S8_S8_S8_S8_S8_S8_S8_EEEE15transform_tupleIifEEEPS9_S9_12reduce_tupleIifEEE10hipError_tPvRmT1_T2_T3_mT4_P12ihipStream_tbEUlT_E0_NS1_11comp_targetILNS1_3genE2ELNS1_11target_archE906ELNS1_3gpuE6ELNS1_3repE0EEENS1_30default_config_static_selectorELNS0_4arch9wavefront6targetE0EEEvSY_.kd
    .uniform_work_group_size: 1
    .uses_dynamic_stack: false
    .vgpr_count:     0
    .vgpr_spill_count: 0
    .wavefront_size: 32
    .workgroup_processor_mode: 1
  - .args:
      - .offset:         0
        .size:           80
        .value_kind:     by_value
    .group_segment_fixed_size: 0
    .kernarg_segment_align: 8
    .kernarg_segment_size: 80
    .language:       OpenCL C
    .language_version:
      - 2
      - 0
    .max_flat_workgroup_size: 256
    .name:           _ZN7rocprim17ROCPRIM_400000_NS6detail17trampoline_kernelINS0_14default_configENS1_22reduce_config_selectorIN6thrust23THRUST_200600_302600_NS5tupleIbffNS6_9null_typeES8_S8_S8_S8_S8_S8_EEEEZNS1_11reduce_implILb1ES3_NS6_11hip_rocprim26transform_input_iterator_tIS9_NS6_12zip_iteratorINS7_INS6_17counting_iteratorIiNS6_11use_defaultESG_SG_EENS6_6detail15normal_iteratorINS6_10device_ptrIfEEEES8_S8_S8_S8_S8_S8_S8_S8_EEEE15transform_tupleIifEEEPS9_S9_12reduce_tupleIifEEE10hipError_tPvRmT1_T2_T3_mT4_P12ihipStream_tbEUlT_E0_NS1_11comp_targetILNS1_3genE10ELNS1_11target_archE1201ELNS1_3gpuE5ELNS1_3repE0EEENS1_30default_config_static_selectorELNS0_4arch9wavefront6targetE0EEEvSY_
    .private_segment_fixed_size: 0
    .sgpr_count:     0
    .sgpr_spill_count: 0
    .symbol:         _ZN7rocprim17ROCPRIM_400000_NS6detail17trampoline_kernelINS0_14default_configENS1_22reduce_config_selectorIN6thrust23THRUST_200600_302600_NS5tupleIbffNS6_9null_typeES8_S8_S8_S8_S8_S8_EEEEZNS1_11reduce_implILb1ES3_NS6_11hip_rocprim26transform_input_iterator_tIS9_NS6_12zip_iteratorINS7_INS6_17counting_iteratorIiNS6_11use_defaultESG_SG_EENS6_6detail15normal_iteratorINS6_10device_ptrIfEEEES8_S8_S8_S8_S8_S8_S8_S8_EEEE15transform_tupleIifEEEPS9_S9_12reduce_tupleIifEEE10hipError_tPvRmT1_T2_T3_mT4_P12ihipStream_tbEUlT_E0_NS1_11comp_targetILNS1_3genE10ELNS1_11target_archE1201ELNS1_3gpuE5ELNS1_3repE0EEENS1_30default_config_static_selectorELNS0_4arch9wavefront6targetE0EEEvSY_.kd
    .uniform_work_group_size: 1
    .uses_dynamic_stack: false
    .vgpr_count:     0
    .vgpr_spill_count: 0
    .wavefront_size: 32
    .workgroup_processor_mode: 1
  - .args:
      - .offset:         0
        .size:           80
        .value_kind:     by_value
    .group_segment_fixed_size: 0
    .kernarg_segment_align: 8
    .kernarg_segment_size: 80
    .language:       OpenCL C
    .language_version:
      - 2
      - 0
    .max_flat_workgroup_size: 256
    .name:           _ZN7rocprim17ROCPRIM_400000_NS6detail17trampoline_kernelINS0_14default_configENS1_22reduce_config_selectorIN6thrust23THRUST_200600_302600_NS5tupleIbffNS6_9null_typeES8_S8_S8_S8_S8_S8_EEEEZNS1_11reduce_implILb1ES3_NS6_11hip_rocprim26transform_input_iterator_tIS9_NS6_12zip_iteratorINS7_INS6_17counting_iteratorIiNS6_11use_defaultESG_SG_EENS6_6detail15normal_iteratorINS6_10device_ptrIfEEEES8_S8_S8_S8_S8_S8_S8_S8_EEEE15transform_tupleIifEEEPS9_S9_12reduce_tupleIifEEE10hipError_tPvRmT1_T2_T3_mT4_P12ihipStream_tbEUlT_E0_NS1_11comp_targetILNS1_3genE10ELNS1_11target_archE1200ELNS1_3gpuE4ELNS1_3repE0EEENS1_30default_config_static_selectorELNS0_4arch9wavefront6targetE0EEEvSY_
    .private_segment_fixed_size: 0
    .sgpr_count:     0
    .sgpr_spill_count: 0
    .symbol:         _ZN7rocprim17ROCPRIM_400000_NS6detail17trampoline_kernelINS0_14default_configENS1_22reduce_config_selectorIN6thrust23THRUST_200600_302600_NS5tupleIbffNS6_9null_typeES8_S8_S8_S8_S8_S8_EEEEZNS1_11reduce_implILb1ES3_NS6_11hip_rocprim26transform_input_iterator_tIS9_NS6_12zip_iteratorINS7_INS6_17counting_iteratorIiNS6_11use_defaultESG_SG_EENS6_6detail15normal_iteratorINS6_10device_ptrIfEEEES8_S8_S8_S8_S8_S8_S8_S8_EEEE15transform_tupleIifEEEPS9_S9_12reduce_tupleIifEEE10hipError_tPvRmT1_T2_T3_mT4_P12ihipStream_tbEUlT_E0_NS1_11comp_targetILNS1_3genE10ELNS1_11target_archE1200ELNS1_3gpuE4ELNS1_3repE0EEENS1_30default_config_static_selectorELNS0_4arch9wavefront6targetE0EEEvSY_.kd
    .uniform_work_group_size: 1
    .uses_dynamic_stack: false
    .vgpr_count:     0
    .vgpr_spill_count: 0
    .wavefront_size: 32
    .workgroup_processor_mode: 1
  - .args:
      - .offset:         0
        .size:           80
        .value_kind:     by_value
    .group_segment_fixed_size: 0
    .kernarg_segment_align: 8
    .kernarg_segment_size: 80
    .language:       OpenCL C
    .language_version:
      - 2
      - 0
    .max_flat_workgroup_size: 256
    .name:           _ZN7rocprim17ROCPRIM_400000_NS6detail17trampoline_kernelINS0_14default_configENS1_22reduce_config_selectorIN6thrust23THRUST_200600_302600_NS5tupleIbffNS6_9null_typeES8_S8_S8_S8_S8_S8_EEEEZNS1_11reduce_implILb1ES3_NS6_11hip_rocprim26transform_input_iterator_tIS9_NS6_12zip_iteratorINS7_INS6_17counting_iteratorIiNS6_11use_defaultESG_SG_EENS6_6detail15normal_iteratorINS6_10device_ptrIfEEEES8_S8_S8_S8_S8_S8_S8_S8_EEEE15transform_tupleIifEEEPS9_S9_12reduce_tupleIifEEE10hipError_tPvRmT1_T2_T3_mT4_P12ihipStream_tbEUlT_E0_NS1_11comp_targetILNS1_3genE9ELNS1_11target_archE1100ELNS1_3gpuE3ELNS1_3repE0EEENS1_30default_config_static_selectorELNS0_4arch9wavefront6targetE0EEEvSY_
    .private_segment_fixed_size: 0
    .sgpr_count:     0
    .sgpr_spill_count: 0
    .symbol:         _ZN7rocprim17ROCPRIM_400000_NS6detail17trampoline_kernelINS0_14default_configENS1_22reduce_config_selectorIN6thrust23THRUST_200600_302600_NS5tupleIbffNS6_9null_typeES8_S8_S8_S8_S8_S8_EEEEZNS1_11reduce_implILb1ES3_NS6_11hip_rocprim26transform_input_iterator_tIS9_NS6_12zip_iteratorINS7_INS6_17counting_iteratorIiNS6_11use_defaultESG_SG_EENS6_6detail15normal_iteratorINS6_10device_ptrIfEEEES8_S8_S8_S8_S8_S8_S8_S8_EEEE15transform_tupleIifEEEPS9_S9_12reduce_tupleIifEEE10hipError_tPvRmT1_T2_T3_mT4_P12ihipStream_tbEUlT_E0_NS1_11comp_targetILNS1_3genE9ELNS1_11target_archE1100ELNS1_3gpuE3ELNS1_3repE0EEENS1_30default_config_static_selectorELNS0_4arch9wavefront6targetE0EEEvSY_.kd
    .uniform_work_group_size: 1
    .uses_dynamic_stack: false
    .vgpr_count:     0
    .vgpr_spill_count: 0
    .wavefront_size: 32
    .workgroup_processor_mode: 1
  - .args:
      - .offset:         0
        .size:           80
        .value_kind:     by_value
    .group_segment_fixed_size: 192
    .kernarg_segment_align: 8
    .kernarg_segment_size: 80
    .language:       OpenCL C
    .language_version:
      - 2
      - 0
    .max_flat_workgroup_size: 256
    .name:           _ZN7rocprim17ROCPRIM_400000_NS6detail17trampoline_kernelINS0_14default_configENS1_22reduce_config_selectorIN6thrust23THRUST_200600_302600_NS5tupleIbffNS6_9null_typeES8_S8_S8_S8_S8_S8_EEEEZNS1_11reduce_implILb1ES3_NS6_11hip_rocprim26transform_input_iterator_tIS9_NS6_12zip_iteratorINS7_INS6_17counting_iteratorIiNS6_11use_defaultESG_SG_EENS6_6detail15normal_iteratorINS6_10device_ptrIfEEEES8_S8_S8_S8_S8_S8_S8_S8_EEEE15transform_tupleIifEEEPS9_S9_12reduce_tupleIifEEE10hipError_tPvRmT1_T2_T3_mT4_P12ihipStream_tbEUlT_E0_NS1_11comp_targetILNS1_3genE8ELNS1_11target_archE1030ELNS1_3gpuE2ELNS1_3repE0EEENS1_30default_config_static_selectorELNS0_4arch9wavefront6targetE0EEEvSY_
    .private_segment_fixed_size: 0
    .sgpr_count:     26
    .sgpr_spill_count: 0
    .symbol:         _ZN7rocprim17ROCPRIM_400000_NS6detail17trampoline_kernelINS0_14default_configENS1_22reduce_config_selectorIN6thrust23THRUST_200600_302600_NS5tupleIbffNS6_9null_typeES8_S8_S8_S8_S8_S8_EEEEZNS1_11reduce_implILb1ES3_NS6_11hip_rocprim26transform_input_iterator_tIS9_NS6_12zip_iteratorINS7_INS6_17counting_iteratorIiNS6_11use_defaultESG_SG_EENS6_6detail15normal_iteratorINS6_10device_ptrIfEEEES8_S8_S8_S8_S8_S8_S8_S8_EEEE15transform_tupleIifEEEPS9_S9_12reduce_tupleIifEEE10hipError_tPvRmT1_T2_T3_mT4_P12ihipStream_tbEUlT_E0_NS1_11comp_targetILNS1_3genE8ELNS1_11target_archE1030ELNS1_3gpuE2ELNS1_3repE0EEENS1_30default_config_static_selectorELNS0_4arch9wavefront6targetE0EEEvSY_.kd
    .uniform_work_group_size: 1
    .uses_dynamic_stack: false
    .vgpr_count:     13
    .vgpr_spill_count: 0
    .wavefront_size: 32
    .workgroup_processor_mode: 1
  - .args:
      - .offset:         0
        .size:           64
        .value_kind:     by_value
    .group_segment_fixed_size: 0
    .kernarg_segment_align: 8
    .kernarg_segment_size: 64
    .language:       OpenCL C
    .language_version:
      - 2
      - 0
    .max_flat_workgroup_size: 128
    .name:           _ZN7rocprim17ROCPRIM_400000_NS6detail17trampoline_kernelINS0_14default_configENS1_22reduce_config_selectorIN6thrust23THRUST_200600_302600_NS5tupleIbffNS6_9null_typeES8_S8_S8_S8_S8_S8_EEEEZNS1_11reduce_implILb1ES3_NS6_11hip_rocprim26transform_input_iterator_tIS9_NS6_12zip_iteratorINS7_INS6_17counting_iteratorIiNS6_11use_defaultESG_SG_EENS6_6detail15normal_iteratorINS6_10device_ptrIfEEEES8_S8_S8_S8_S8_S8_S8_S8_EEEE15transform_tupleIifEEEPS9_S9_12reduce_tupleIifEEE10hipError_tPvRmT1_T2_T3_mT4_P12ihipStream_tbEUlT_E1_NS1_11comp_targetILNS1_3genE0ELNS1_11target_archE4294967295ELNS1_3gpuE0ELNS1_3repE0EEENS1_30default_config_static_selectorELNS0_4arch9wavefront6targetE0EEEvSY_
    .private_segment_fixed_size: 0
    .sgpr_count:     0
    .sgpr_spill_count: 0
    .symbol:         _ZN7rocprim17ROCPRIM_400000_NS6detail17trampoline_kernelINS0_14default_configENS1_22reduce_config_selectorIN6thrust23THRUST_200600_302600_NS5tupleIbffNS6_9null_typeES8_S8_S8_S8_S8_S8_EEEEZNS1_11reduce_implILb1ES3_NS6_11hip_rocprim26transform_input_iterator_tIS9_NS6_12zip_iteratorINS7_INS6_17counting_iteratorIiNS6_11use_defaultESG_SG_EENS6_6detail15normal_iteratorINS6_10device_ptrIfEEEES8_S8_S8_S8_S8_S8_S8_S8_EEEE15transform_tupleIifEEEPS9_S9_12reduce_tupleIifEEE10hipError_tPvRmT1_T2_T3_mT4_P12ihipStream_tbEUlT_E1_NS1_11comp_targetILNS1_3genE0ELNS1_11target_archE4294967295ELNS1_3gpuE0ELNS1_3repE0EEENS1_30default_config_static_selectorELNS0_4arch9wavefront6targetE0EEEvSY_.kd
    .uniform_work_group_size: 1
    .uses_dynamic_stack: false
    .vgpr_count:     0
    .vgpr_spill_count: 0
    .wavefront_size: 32
    .workgroup_processor_mode: 1
  - .args:
      - .offset:         0
        .size:           64
        .value_kind:     by_value
    .group_segment_fixed_size: 0
    .kernarg_segment_align: 8
    .kernarg_segment_size: 64
    .language:       OpenCL C
    .language_version:
      - 2
      - 0
    .max_flat_workgroup_size: 256
    .name:           _ZN7rocprim17ROCPRIM_400000_NS6detail17trampoline_kernelINS0_14default_configENS1_22reduce_config_selectorIN6thrust23THRUST_200600_302600_NS5tupleIbffNS6_9null_typeES8_S8_S8_S8_S8_S8_EEEEZNS1_11reduce_implILb1ES3_NS6_11hip_rocprim26transform_input_iterator_tIS9_NS6_12zip_iteratorINS7_INS6_17counting_iteratorIiNS6_11use_defaultESG_SG_EENS6_6detail15normal_iteratorINS6_10device_ptrIfEEEES8_S8_S8_S8_S8_S8_S8_S8_EEEE15transform_tupleIifEEEPS9_S9_12reduce_tupleIifEEE10hipError_tPvRmT1_T2_T3_mT4_P12ihipStream_tbEUlT_E1_NS1_11comp_targetILNS1_3genE5ELNS1_11target_archE942ELNS1_3gpuE9ELNS1_3repE0EEENS1_30default_config_static_selectorELNS0_4arch9wavefront6targetE0EEEvSY_
    .private_segment_fixed_size: 0
    .sgpr_count:     0
    .sgpr_spill_count: 0
    .symbol:         _ZN7rocprim17ROCPRIM_400000_NS6detail17trampoline_kernelINS0_14default_configENS1_22reduce_config_selectorIN6thrust23THRUST_200600_302600_NS5tupleIbffNS6_9null_typeES8_S8_S8_S8_S8_S8_EEEEZNS1_11reduce_implILb1ES3_NS6_11hip_rocprim26transform_input_iterator_tIS9_NS6_12zip_iteratorINS7_INS6_17counting_iteratorIiNS6_11use_defaultESG_SG_EENS6_6detail15normal_iteratorINS6_10device_ptrIfEEEES8_S8_S8_S8_S8_S8_S8_S8_EEEE15transform_tupleIifEEEPS9_S9_12reduce_tupleIifEEE10hipError_tPvRmT1_T2_T3_mT4_P12ihipStream_tbEUlT_E1_NS1_11comp_targetILNS1_3genE5ELNS1_11target_archE942ELNS1_3gpuE9ELNS1_3repE0EEENS1_30default_config_static_selectorELNS0_4arch9wavefront6targetE0EEEvSY_.kd
    .uniform_work_group_size: 1
    .uses_dynamic_stack: false
    .vgpr_count:     0
    .vgpr_spill_count: 0
    .wavefront_size: 32
    .workgroup_processor_mode: 1
  - .args:
      - .offset:         0
        .size:           64
        .value_kind:     by_value
    .group_segment_fixed_size: 0
    .kernarg_segment_align: 8
    .kernarg_segment_size: 64
    .language:       OpenCL C
    .language_version:
      - 2
      - 0
    .max_flat_workgroup_size: 256
    .name:           _ZN7rocprim17ROCPRIM_400000_NS6detail17trampoline_kernelINS0_14default_configENS1_22reduce_config_selectorIN6thrust23THRUST_200600_302600_NS5tupleIbffNS6_9null_typeES8_S8_S8_S8_S8_S8_EEEEZNS1_11reduce_implILb1ES3_NS6_11hip_rocprim26transform_input_iterator_tIS9_NS6_12zip_iteratorINS7_INS6_17counting_iteratorIiNS6_11use_defaultESG_SG_EENS6_6detail15normal_iteratorINS6_10device_ptrIfEEEES8_S8_S8_S8_S8_S8_S8_S8_EEEE15transform_tupleIifEEEPS9_S9_12reduce_tupleIifEEE10hipError_tPvRmT1_T2_T3_mT4_P12ihipStream_tbEUlT_E1_NS1_11comp_targetILNS1_3genE4ELNS1_11target_archE910ELNS1_3gpuE8ELNS1_3repE0EEENS1_30default_config_static_selectorELNS0_4arch9wavefront6targetE0EEEvSY_
    .private_segment_fixed_size: 0
    .sgpr_count:     0
    .sgpr_spill_count: 0
    .symbol:         _ZN7rocprim17ROCPRIM_400000_NS6detail17trampoline_kernelINS0_14default_configENS1_22reduce_config_selectorIN6thrust23THRUST_200600_302600_NS5tupleIbffNS6_9null_typeES8_S8_S8_S8_S8_S8_EEEEZNS1_11reduce_implILb1ES3_NS6_11hip_rocprim26transform_input_iterator_tIS9_NS6_12zip_iteratorINS7_INS6_17counting_iteratorIiNS6_11use_defaultESG_SG_EENS6_6detail15normal_iteratorINS6_10device_ptrIfEEEES8_S8_S8_S8_S8_S8_S8_S8_EEEE15transform_tupleIifEEEPS9_S9_12reduce_tupleIifEEE10hipError_tPvRmT1_T2_T3_mT4_P12ihipStream_tbEUlT_E1_NS1_11comp_targetILNS1_3genE4ELNS1_11target_archE910ELNS1_3gpuE8ELNS1_3repE0EEENS1_30default_config_static_selectorELNS0_4arch9wavefront6targetE0EEEvSY_.kd
    .uniform_work_group_size: 1
    .uses_dynamic_stack: false
    .vgpr_count:     0
    .vgpr_spill_count: 0
    .wavefront_size: 32
    .workgroup_processor_mode: 1
  - .args:
      - .offset:         0
        .size:           64
        .value_kind:     by_value
    .group_segment_fixed_size: 0
    .kernarg_segment_align: 8
    .kernarg_segment_size: 64
    .language:       OpenCL C
    .language_version:
      - 2
      - 0
    .max_flat_workgroup_size: 128
    .name:           _ZN7rocprim17ROCPRIM_400000_NS6detail17trampoline_kernelINS0_14default_configENS1_22reduce_config_selectorIN6thrust23THRUST_200600_302600_NS5tupleIbffNS6_9null_typeES8_S8_S8_S8_S8_S8_EEEEZNS1_11reduce_implILb1ES3_NS6_11hip_rocprim26transform_input_iterator_tIS9_NS6_12zip_iteratorINS7_INS6_17counting_iteratorIiNS6_11use_defaultESG_SG_EENS6_6detail15normal_iteratorINS6_10device_ptrIfEEEES8_S8_S8_S8_S8_S8_S8_S8_EEEE15transform_tupleIifEEEPS9_S9_12reduce_tupleIifEEE10hipError_tPvRmT1_T2_T3_mT4_P12ihipStream_tbEUlT_E1_NS1_11comp_targetILNS1_3genE3ELNS1_11target_archE908ELNS1_3gpuE7ELNS1_3repE0EEENS1_30default_config_static_selectorELNS0_4arch9wavefront6targetE0EEEvSY_
    .private_segment_fixed_size: 0
    .sgpr_count:     0
    .sgpr_spill_count: 0
    .symbol:         _ZN7rocprim17ROCPRIM_400000_NS6detail17trampoline_kernelINS0_14default_configENS1_22reduce_config_selectorIN6thrust23THRUST_200600_302600_NS5tupleIbffNS6_9null_typeES8_S8_S8_S8_S8_S8_EEEEZNS1_11reduce_implILb1ES3_NS6_11hip_rocprim26transform_input_iterator_tIS9_NS6_12zip_iteratorINS7_INS6_17counting_iteratorIiNS6_11use_defaultESG_SG_EENS6_6detail15normal_iteratorINS6_10device_ptrIfEEEES8_S8_S8_S8_S8_S8_S8_S8_EEEE15transform_tupleIifEEEPS9_S9_12reduce_tupleIifEEE10hipError_tPvRmT1_T2_T3_mT4_P12ihipStream_tbEUlT_E1_NS1_11comp_targetILNS1_3genE3ELNS1_11target_archE908ELNS1_3gpuE7ELNS1_3repE0EEENS1_30default_config_static_selectorELNS0_4arch9wavefront6targetE0EEEvSY_.kd
    .uniform_work_group_size: 1
    .uses_dynamic_stack: false
    .vgpr_count:     0
    .vgpr_spill_count: 0
    .wavefront_size: 32
    .workgroup_processor_mode: 1
  - .args:
      - .offset:         0
        .size:           64
        .value_kind:     by_value
    .group_segment_fixed_size: 0
    .kernarg_segment_align: 8
    .kernarg_segment_size: 64
    .language:       OpenCL C
    .language_version:
      - 2
      - 0
    .max_flat_workgroup_size: 128
    .name:           _ZN7rocprim17ROCPRIM_400000_NS6detail17trampoline_kernelINS0_14default_configENS1_22reduce_config_selectorIN6thrust23THRUST_200600_302600_NS5tupleIbffNS6_9null_typeES8_S8_S8_S8_S8_S8_EEEEZNS1_11reduce_implILb1ES3_NS6_11hip_rocprim26transform_input_iterator_tIS9_NS6_12zip_iteratorINS7_INS6_17counting_iteratorIiNS6_11use_defaultESG_SG_EENS6_6detail15normal_iteratorINS6_10device_ptrIfEEEES8_S8_S8_S8_S8_S8_S8_S8_EEEE15transform_tupleIifEEEPS9_S9_12reduce_tupleIifEEE10hipError_tPvRmT1_T2_T3_mT4_P12ihipStream_tbEUlT_E1_NS1_11comp_targetILNS1_3genE2ELNS1_11target_archE906ELNS1_3gpuE6ELNS1_3repE0EEENS1_30default_config_static_selectorELNS0_4arch9wavefront6targetE0EEEvSY_
    .private_segment_fixed_size: 0
    .sgpr_count:     0
    .sgpr_spill_count: 0
    .symbol:         _ZN7rocprim17ROCPRIM_400000_NS6detail17trampoline_kernelINS0_14default_configENS1_22reduce_config_selectorIN6thrust23THRUST_200600_302600_NS5tupleIbffNS6_9null_typeES8_S8_S8_S8_S8_S8_EEEEZNS1_11reduce_implILb1ES3_NS6_11hip_rocprim26transform_input_iterator_tIS9_NS6_12zip_iteratorINS7_INS6_17counting_iteratorIiNS6_11use_defaultESG_SG_EENS6_6detail15normal_iteratorINS6_10device_ptrIfEEEES8_S8_S8_S8_S8_S8_S8_S8_EEEE15transform_tupleIifEEEPS9_S9_12reduce_tupleIifEEE10hipError_tPvRmT1_T2_T3_mT4_P12ihipStream_tbEUlT_E1_NS1_11comp_targetILNS1_3genE2ELNS1_11target_archE906ELNS1_3gpuE6ELNS1_3repE0EEENS1_30default_config_static_selectorELNS0_4arch9wavefront6targetE0EEEvSY_.kd
    .uniform_work_group_size: 1
    .uses_dynamic_stack: false
    .vgpr_count:     0
    .vgpr_spill_count: 0
    .wavefront_size: 32
    .workgroup_processor_mode: 1
  - .args:
      - .offset:         0
        .size:           64
        .value_kind:     by_value
    .group_segment_fixed_size: 0
    .kernarg_segment_align: 8
    .kernarg_segment_size: 64
    .language:       OpenCL C
    .language_version:
      - 2
      - 0
    .max_flat_workgroup_size: 256
    .name:           _ZN7rocprim17ROCPRIM_400000_NS6detail17trampoline_kernelINS0_14default_configENS1_22reduce_config_selectorIN6thrust23THRUST_200600_302600_NS5tupleIbffNS6_9null_typeES8_S8_S8_S8_S8_S8_EEEEZNS1_11reduce_implILb1ES3_NS6_11hip_rocprim26transform_input_iterator_tIS9_NS6_12zip_iteratorINS7_INS6_17counting_iteratorIiNS6_11use_defaultESG_SG_EENS6_6detail15normal_iteratorINS6_10device_ptrIfEEEES8_S8_S8_S8_S8_S8_S8_S8_EEEE15transform_tupleIifEEEPS9_S9_12reduce_tupleIifEEE10hipError_tPvRmT1_T2_T3_mT4_P12ihipStream_tbEUlT_E1_NS1_11comp_targetILNS1_3genE10ELNS1_11target_archE1201ELNS1_3gpuE5ELNS1_3repE0EEENS1_30default_config_static_selectorELNS0_4arch9wavefront6targetE0EEEvSY_
    .private_segment_fixed_size: 0
    .sgpr_count:     0
    .sgpr_spill_count: 0
    .symbol:         _ZN7rocprim17ROCPRIM_400000_NS6detail17trampoline_kernelINS0_14default_configENS1_22reduce_config_selectorIN6thrust23THRUST_200600_302600_NS5tupleIbffNS6_9null_typeES8_S8_S8_S8_S8_S8_EEEEZNS1_11reduce_implILb1ES3_NS6_11hip_rocprim26transform_input_iterator_tIS9_NS6_12zip_iteratorINS7_INS6_17counting_iteratorIiNS6_11use_defaultESG_SG_EENS6_6detail15normal_iteratorINS6_10device_ptrIfEEEES8_S8_S8_S8_S8_S8_S8_S8_EEEE15transform_tupleIifEEEPS9_S9_12reduce_tupleIifEEE10hipError_tPvRmT1_T2_T3_mT4_P12ihipStream_tbEUlT_E1_NS1_11comp_targetILNS1_3genE10ELNS1_11target_archE1201ELNS1_3gpuE5ELNS1_3repE0EEENS1_30default_config_static_selectorELNS0_4arch9wavefront6targetE0EEEvSY_.kd
    .uniform_work_group_size: 1
    .uses_dynamic_stack: false
    .vgpr_count:     0
    .vgpr_spill_count: 0
    .wavefront_size: 32
    .workgroup_processor_mode: 1
  - .args:
      - .offset:         0
        .size:           64
        .value_kind:     by_value
    .group_segment_fixed_size: 0
    .kernarg_segment_align: 8
    .kernarg_segment_size: 64
    .language:       OpenCL C
    .language_version:
      - 2
      - 0
    .max_flat_workgroup_size: 256
    .name:           _ZN7rocprim17ROCPRIM_400000_NS6detail17trampoline_kernelINS0_14default_configENS1_22reduce_config_selectorIN6thrust23THRUST_200600_302600_NS5tupleIbffNS6_9null_typeES8_S8_S8_S8_S8_S8_EEEEZNS1_11reduce_implILb1ES3_NS6_11hip_rocprim26transform_input_iterator_tIS9_NS6_12zip_iteratorINS7_INS6_17counting_iteratorIiNS6_11use_defaultESG_SG_EENS6_6detail15normal_iteratorINS6_10device_ptrIfEEEES8_S8_S8_S8_S8_S8_S8_S8_EEEE15transform_tupleIifEEEPS9_S9_12reduce_tupleIifEEE10hipError_tPvRmT1_T2_T3_mT4_P12ihipStream_tbEUlT_E1_NS1_11comp_targetILNS1_3genE10ELNS1_11target_archE1200ELNS1_3gpuE4ELNS1_3repE0EEENS1_30default_config_static_selectorELNS0_4arch9wavefront6targetE0EEEvSY_
    .private_segment_fixed_size: 0
    .sgpr_count:     0
    .sgpr_spill_count: 0
    .symbol:         _ZN7rocprim17ROCPRIM_400000_NS6detail17trampoline_kernelINS0_14default_configENS1_22reduce_config_selectorIN6thrust23THRUST_200600_302600_NS5tupleIbffNS6_9null_typeES8_S8_S8_S8_S8_S8_EEEEZNS1_11reduce_implILb1ES3_NS6_11hip_rocprim26transform_input_iterator_tIS9_NS6_12zip_iteratorINS7_INS6_17counting_iteratorIiNS6_11use_defaultESG_SG_EENS6_6detail15normal_iteratorINS6_10device_ptrIfEEEES8_S8_S8_S8_S8_S8_S8_S8_EEEE15transform_tupleIifEEEPS9_S9_12reduce_tupleIifEEE10hipError_tPvRmT1_T2_T3_mT4_P12ihipStream_tbEUlT_E1_NS1_11comp_targetILNS1_3genE10ELNS1_11target_archE1200ELNS1_3gpuE4ELNS1_3repE0EEENS1_30default_config_static_selectorELNS0_4arch9wavefront6targetE0EEEvSY_.kd
    .uniform_work_group_size: 1
    .uses_dynamic_stack: false
    .vgpr_count:     0
    .vgpr_spill_count: 0
    .wavefront_size: 32
    .workgroup_processor_mode: 1
  - .args:
      - .offset:         0
        .size:           64
        .value_kind:     by_value
    .group_segment_fixed_size: 0
    .kernarg_segment_align: 8
    .kernarg_segment_size: 64
    .language:       OpenCL C
    .language_version:
      - 2
      - 0
    .max_flat_workgroup_size: 256
    .name:           _ZN7rocprim17ROCPRIM_400000_NS6detail17trampoline_kernelINS0_14default_configENS1_22reduce_config_selectorIN6thrust23THRUST_200600_302600_NS5tupleIbffNS6_9null_typeES8_S8_S8_S8_S8_S8_EEEEZNS1_11reduce_implILb1ES3_NS6_11hip_rocprim26transform_input_iterator_tIS9_NS6_12zip_iteratorINS7_INS6_17counting_iteratorIiNS6_11use_defaultESG_SG_EENS6_6detail15normal_iteratorINS6_10device_ptrIfEEEES8_S8_S8_S8_S8_S8_S8_S8_EEEE15transform_tupleIifEEEPS9_S9_12reduce_tupleIifEEE10hipError_tPvRmT1_T2_T3_mT4_P12ihipStream_tbEUlT_E1_NS1_11comp_targetILNS1_3genE9ELNS1_11target_archE1100ELNS1_3gpuE3ELNS1_3repE0EEENS1_30default_config_static_selectorELNS0_4arch9wavefront6targetE0EEEvSY_
    .private_segment_fixed_size: 0
    .sgpr_count:     0
    .sgpr_spill_count: 0
    .symbol:         _ZN7rocprim17ROCPRIM_400000_NS6detail17trampoline_kernelINS0_14default_configENS1_22reduce_config_selectorIN6thrust23THRUST_200600_302600_NS5tupleIbffNS6_9null_typeES8_S8_S8_S8_S8_S8_EEEEZNS1_11reduce_implILb1ES3_NS6_11hip_rocprim26transform_input_iterator_tIS9_NS6_12zip_iteratorINS7_INS6_17counting_iteratorIiNS6_11use_defaultESG_SG_EENS6_6detail15normal_iteratorINS6_10device_ptrIfEEEES8_S8_S8_S8_S8_S8_S8_S8_EEEE15transform_tupleIifEEEPS9_S9_12reduce_tupleIifEEE10hipError_tPvRmT1_T2_T3_mT4_P12ihipStream_tbEUlT_E1_NS1_11comp_targetILNS1_3genE9ELNS1_11target_archE1100ELNS1_3gpuE3ELNS1_3repE0EEENS1_30default_config_static_selectorELNS0_4arch9wavefront6targetE0EEEvSY_.kd
    .uniform_work_group_size: 1
    .uses_dynamic_stack: false
    .vgpr_count:     0
    .vgpr_spill_count: 0
    .wavefront_size: 32
    .workgroup_processor_mode: 1
  - .args:
      - .offset:         0
        .size:           64
        .value_kind:     by_value
    .group_segment_fixed_size: 576
    .kernarg_segment_align: 8
    .kernarg_segment_size: 64
    .language:       OpenCL C
    .language_version:
      - 2
      - 0
    .max_flat_workgroup_size: 256
    .name:           _ZN7rocprim17ROCPRIM_400000_NS6detail17trampoline_kernelINS0_14default_configENS1_22reduce_config_selectorIN6thrust23THRUST_200600_302600_NS5tupleIbffNS6_9null_typeES8_S8_S8_S8_S8_S8_EEEEZNS1_11reduce_implILb1ES3_NS6_11hip_rocprim26transform_input_iterator_tIS9_NS6_12zip_iteratorINS7_INS6_17counting_iteratorIiNS6_11use_defaultESG_SG_EENS6_6detail15normal_iteratorINS6_10device_ptrIfEEEES8_S8_S8_S8_S8_S8_S8_S8_EEEE15transform_tupleIifEEEPS9_S9_12reduce_tupleIifEEE10hipError_tPvRmT1_T2_T3_mT4_P12ihipStream_tbEUlT_E1_NS1_11comp_targetILNS1_3genE8ELNS1_11target_archE1030ELNS1_3gpuE2ELNS1_3repE0EEENS1_30default_config_static_selectorELNS0_4arch9wavefront6targetE0EEEvSY_
    .private_segment_fixed_size: 0
    .sgpr_count:     40
    .sgpr_spill_count: 0
    .symbol:         _ZN7rocprim17ROCPRIM_400000_NS6detail17trampoline_kernelINS0_14default_configENS1_22reduce_config_selectorIN6thrust23THRUST_200600_302600_NS5tupleIbffNS6_9null_typeES8_S8_S8_S8_S8_S8_EEEEZNS1_11reduce_implILb1ES3_NS6_11hip_rocprim26transform_input_iterator_tIS9_NS6_12zip_iteratorINS7_INS6_17counting_iteratorIiNS6_11use_defaultESG_SG_EENS6_6detail15normal_iteratorINS6_10device_ptrIfEEEES8_S8_S8_S8_S8_S8_S8_S8_EEEE15transform_tupleIifEEEPS9_S9_12reduce_tupleIifEEE10hipError_tPvRmT1_T2_T3_mT4_P12ihipStream_tbEUlT_E1_NS1_11comp_targetILNS1_3genE8ELNS1_11target_archE1030ELNS1_3gpuE2ELNS1_3repE0EEENS1_30default_config_static_selectorELNS0_4arch9wavefront6targetE0EEEvSY_.kd
    .uniform_work_group_size: 1
    .uses_dynamic_stack: false
    .vgpr_count:     36
    .vgpr_spill_count: 0
    .wavefront_size: 32
    .workgroup_processor_mode: 1
  - .args:
      - .offset:         0
        .size:           16
        .value_kind:     by_value
      - .offset:         16
        .size:           8
        .value_kind:     by_value
      - .offset:         24
        .size:           8
        .value_kind:     by_value
    .group_segment_fixed_size: 0
    .kernarg_segment_align: 8
    .kernarg_segment_size: 32
    .language:       OpenCL C
    .language_version:
      - 2
      - 0
    .max_flat_workgroup_size: 256
    .name:           _ZN6thrust23THRUST_200600_302600_NS11hip_rocprim14__parallel_for6kernelILj256ENS1_10for_each_fINS0_7pointerINS0_5tupleIbffNS0_9null_typeES7_S7_S7_S7_S7_S7_EENS1_3tagENS0_11use_defaultESA_EENS0_6detail16wrapped_functionINSC_23allocator_traits_detail24construct1_via_allocatorINSC_18no_throw_allocatorINSC_19temporary_allocatorIS8_S9_EEEEEEvEEEEmLj1EEEvT0_T1_SO_
    .private_segment_fixed_size: 0
    .sgpr_count:     14
    .sgpr_spill_count: 0
    .symbol:         _ZN6thrust23THRUST_200600_302600_NS11hip_rocprim14__parallel_for6kernelILj256ENS1_10for_each_fINS0_7pointerINS0_5tupleIbffNS0_9null_typeES7_S7_S7_S7_S7_S7_EENS1_3tagENS0_11use_defaultESA_EENS0_6detail16wrapped_functionINSC_23allocator_traits_detail24construct1_via_allocatorINSC_18no_throw_allocatorINSC_19temporary_allocatorIS8_S9_EEEEEEvEEEEmLj1EEEvT0_T1_SO_.kd
    .uniform_work_group_size: 1
    .uses_dynamic_stack: false
    .vgpr_count:     5
    .vgpr_spill_count: 0
    .wavefront_size: 32
    .workgroup_processor_mode: 1
  - .args:
      - .offset:         0
        .size:           16
        .value_kind:     by_value
      - .offset:         16
        .size:           8
        .value_kind:     by_value
      - .offset:         24
        .size:           8
        .value_kind:     by_value
    .group_segment_fixed_size: 0
    .kernarg_segment_align: 8
    .kernarg_segment_size: 32
    .language:       OpenCL C
    .language_version:
      - 2
      - 0
    .max_flat_workgroup_size: 256
    .name:           _ZN6thrust23THRUST_200600_302600_NS11hip_rocprim14__parallel_for6kernelILj256ENS1_10for_each_fINS0_7pointerINS0_5tupleIbffNS0_9null_typeES7_S7_S7_S7_S7_S7_EENS1_3tagENS0_11use_defaultESA_EENS0_6detail16wrapped_functionINSC_23allocator_traits_detail5gozerEvEEEElLj1EEEvT0_T1_SJ_
    .private_segment_fixed_size: 0
    .sgpr_count:     0
    .sgpr_spill_count: 0
    .symbol:         _ZN6thrust23THRUST_200600_302600_NS11hip_rocprim14__parallel_for6kernelILj256ENS1_10for_each_fINS0_7pointerINS0_5tupleIbffNS0_9null_typeES7_S7_S7_S7_S7_S7_EENS1_3tagENS0_11use_defaultESA_EENS0_6detail16wrapped_functionINSC_23allocator_traits_detail5gozerEvEEEElLj1EEEvT0_T1_SJ_.kd
    .uniform_work_group_size: 1
    .uses_dynamic_stack: false
    .vgpr_count:     0
    .vgpr_spill_count: 0
    .wavefront_size: 32
    .workgroup_processor_mode: 1
  - .args:
      - .offset:         0
        .size:           16
        .value_kind:     by_value
      - .offset:         16
        .size:           8
        .value_kind:     by_value
      - .offset:         24
        .size:           8
        .value_kind:     by_value
    .group_segment_fixed_size: 0
    .kernarg_segment_align: 8
    .kernarg_segment_size: 32
    .language:       OpenCL C
    .language_version:
      - 2
      - 0
    .max_flat_workgroup_size: 256
    .name:           _ZN6thrust23THRUST_200600_302600_NS11hip_rocprim14__parallel_for6kernelILj256ENS1_20__uninitialized_copy7functorIPNS0_5tupleIbffNS0_9null_typeES7_S7_S7_S7_S7_S7_EENS0_7pointerIS8_NS1_3tagENS0_11use_defaultESC_EEEEmLj1EEEvT0_T1_SG_
    .private_segment_fixed_size: 0
    .sgpr_count:     18
    .sgpr_spill_count: 0
    .symbol:         _ZN6thrust23THRUST_200600_302600_NS11hip_rocprim14__parallel_for6kernelILj256ENS1_20__uninitialized_copy7functorIPNS0_5tupleIbffNS0_9null_typeES7_S7_S7_S7_S7_S7_EENS0_7pointerIS8_NS1_3tagENS0_11use_defaultESC_EEEEmLj1EEEvT0_T1_SG_.kd
    .uniform_work_group_size: 1
    .uses_dynamic_stack: false
    .vgpr_count:     6
    .vgpr_spill_count: 0
    .wavefront_size: 32
    .workgroup_processor_mode: 1
amdhsa.target:   amdgcn-amd-amdhsa--gfx1030
amdhsa.version:
  - 1
  - 2
...

	.end_amdgpu_metadata
